;; amdgpu-corpus repo=ROCm/rocSPARSE kind=compiled arch=gfx1250 opt=O3
	.amdgcn_target "amdgcn-amd-amdhsa--gfx1250"
	.amdhsa_code_object_version 6
	.section	.text._ZN9rocsparseL12gemvi_kernelILj1024ELj32EifEEvT1_S1_NS_24const_host_device_scalarIT2_EEPKS3_lS1_S6_PKS1_S4_PS3_21rocsparse_index_base_b,"axG",@progbits,_ZN9rocsparseL12gemvi_kernelILj1024ELj32EifEEvT1_S1_NS_24const_host_device_scalarIT2_EEPKS3_lS1_S6_PKS1_S4_PS3_21rocsparse_index_base_b,comdat
	.globl	_ZN9rocsparseL12gemvi_kernelILj1024ELj32EifEEvT1_S1_NS_24const_host_device_scalarIT2_EEPKS3_lS1_S6_PKS1_S4_PS3_21rocsparse_index_base_b ; -- Begin function _ZN9rocsparseL12gemvi_kernelILj1024ELj32EifEEvT1_S1_NS_24const_host_device_scalarIT2_EEPKS3_lS1_S6_PKS1_S4_PS3_21rocsparse_index_base_b
	.p2align	8
	.type	_ZN9rocsparseL12gemvi_kernelILj1024ELj32EifEEvT1_S1_NS_24const_host_device_scalarIT2_EEPKS3_lS1_S6_PKS1_S4_PS3_21rocsparse_index_base_b,@function
_ZN9rocsparseL12gemvi_kernelILj1024ELj32EifEEvT1_S1_NS_24const_host_device_scalarIT2_EEPKS3_lS1_S6_PKS1_S4_PS3_21rocsparse_index_base_b: ; @_ZN9rocsparseL12gemvi_kernelILj1024ELj32EifEEvT1_S1_NS_24const_host_device_scalarIT2_EEPKS3_lS1_S6_PKS1_S4_PS3_21rocsparse_index_base_b
; %bb.0:
	s_clause 0x2
	s_load_b64 s[12:13], s[0:1], 0x48
	s_load_b64 s[8:9], s[0:1], 0x8
	;; [unrolled: 1-line block ×3, first 2 shown]
	s_wait_kmcnt 0x0
	s_bitcmp1_b32 s13, 0
	s_cselect_b32 s2, -1, 0
	s_delay_alu instid0(SALU_CYCLE_1)
	s_and_b32 vcc_lo, exec_lo, s2
	s_xor_b32 s2, s2, -1
	s_cbranch_vccnz .LBB0_2
; %bb.1:
	s_load_b32 s8, s[8:9], 0x0
.LBB0_2:
	s_and_not1_b32 vcc_lo, exec_lo, s2
	s_cbranch_vccnz .LBB0_4
; %bb.3:
	s_load_b32 s10, s[10:11], 0x0
.LBB0_4:
	s_wait_kmcnt 0x0
	s_cmp_neq_f32 s8, 0
	s_cselect_b32 s2, -1, 0
	s_cmp_neq_f32 s10, 1.0
	s_cselect_b32 s3, -1, 0
	s_delay_alu instid0(SALU_CYCLE_1) | instskip(NEXT) | instid1(SALU_CYCLE_1)
	s_or_b32 s2, s2, s3
	s_and_not1_b32 vcc_lo, exec_lo, s2
	s_cbranch_vccnz .LBB0_25
; %bb.5:
	s_load_b32 s2, s[0:1], 0x0
	s_bfe_u32 s3, ttmp6, 0x4000c
	s_and_b32 s4, ttmp6, 15
	s_add_co_i32 s3, s3, 1
	s_getreg_b32 s5, hwreg(HW_REG_IB_STS2, 6, 4)
	s_mul_i32 s3, ttmp9, s3
	v_dual_mov_b32 v5, 0 :: v_dual_bitop2_b32 v1, 31, v0 bitop3:0x40
	s_add_co_i32 s4, s4, s3
	s_cmp_eq_u32 s5, 0
	s_cselect_b32 s3, ttmp9, s4
	s_delay_alu instid0(VALU_DEP_1) | instid1(SALU_CYCLE_1)
	v_lshl_or_b32 v2, s3, 5, v1
	s_mov_b32 s3, exec_lo
	s_wait_kmcnt 0x0
	s_delay_alu instid0(VALU_DEP_1)
	v_cmp_le_i32_e32 vcc_lo, s2, v2
	v_cmpx_gt_i32_e64 s2, v2
	s_cbranch_execz .LBB0_11
; %bb.6:
	s_load_b32 s11, s[0:1], 0x20
	v_dual_mov_b32 v5, 0 :: v_dual_lshrrev_b32 v12, 5, v0
	s_mov_b32 s9, exec_lo
	s_wait_kmcnt 0x0
	s_delay_alu instid0(VALU_DEP_1)
	v_cmpx_gt_i32_e64 s11, v12
	s_cbranch_execz .LBB0_10
; %bb.7:
	s_clause 0x1
	s_load_b128 s[16:19], s[0:1], 0x28
	s_load_b128 s[4:7], s[0:1], 0x10
	v_dual_lshrrev_b32 v3, 3, v0 :: v_dual_mov_b32 v5, 0
	s_delay_alu instid0(VALU_DEP_1) | instskip(SKIP_2) | instid1(VALU_DEP_2)
	v_and_b32_e32 v4, 0x7c, v3
	v_ashrrev_i32_e32 v3, 31, v2
	s_wait_kmcnt 0x0
	v_add_nc_u64_e32 v[6:7], s[16:17], v[4:5]
	v_add_nc_u64_e32 v[8:9], s[18:19], v[4:5]
	s_delay_alu instid0(VALU_DEP_3)
	v_lshl_add_u64 v[10:11], v[2:3], 2, s[4:5]
	s_mov_b32 s4, 0
.LBB0_8:                                ; =>This Inner Loop Header: Depth=1
	global_load_b32 v3, v[8:9], off
	s_wait_xcnt 0x0
	v_add_nc_u64_e32 v[8:9], 0x80, v[8:9]
	v_add_nc_u32_e32 v12, 32, v12
	s_delay_alu instid0(VALU_DEP_1) | instskip(SKIP_3) | instid1(VALU_DEP_1)
	v_cmp_le_i32_e64 s2, s11, v12
	s_or_b32 s4, s2, s4
	s_wait_loadcnt 0x0
	v_subrev_nc_u32_e32 v14, s12, v3
	v_ashrrev_i32_e32 v15, 31, v14
	s_delay_alu instid0(VALU_DEP_1) | instskip(NEXT) | instid1(VALU_DEP_1)
	v_mul_u64_e32 v[14:15], s[6:7], v[14:15]
	v_lshl_add_u64 v[14:15], v[14:15], 2, v[10:11]
	global_load_b32 v3, v[6:7], off
	global_load_b32 v4, v[14:15], off
	s_wait_xcnt 0x1
	v_add_nc_u64_e32 v[6:7], 0x80, v[6:7]
	s_wait_loadcnt 0x0
	v_fmac_f32_e32 v5, v3, v4
	s_and_not1_b32 exec_lo, exec_lo, s4
	s_cbranch_execnz .LBB0_8
; %bb.9:
	s_or_b32 exec_lo, exec_lo, s4
.LBB0_10:
	s_delay_alu instid0(SALU_CYCLE_1)
	s_or_b32 exec_lo, exec_lo, s9
.LBB0_11:
	s_delay_alu instid0(SALU_CYCLE_1)
	s_or_b32 exec_lo, exec_lo, s3
	v_lshlrev_b32_e32 v3, 2, v0
	s_mov_b32 s3, exec_lo
	ds_store_b32 v3, v5
	s_wait_dscnt 0x0
	s_barrier_signal -1
	s_barrier_wait -1
	v_cmpx_gt_u32_e32 0x200, v0
	s_cbranch_execz .LBB0_13
; %bb.12:
	ds_load_2addr_stride64_b32 v[4:5], v3 offset1:8
	s_wait_dscnt 0x0
	v_add_f32_e32 v4, v5, v4
	ds_store_b32 v3, v4
.LBB0_13:
	s_or_b32 exec_lo, exec_lo, s3
	s_delay_alu instid0(SALU_CYCLE_1)
	s_mov_b32 s3, exec_lo
	s_wait_dscnt 0x0
	s_barrier_signal -1
	s_barrier_wait -1
	v_cmpx_gt_u32_e32 0x100, v0
	s_cbranch_execz .LBB0_15
; %bb.14:
	ds_load_2addr_stride64_b32 v[4:5], v3 offset1:4
	s_wait_dscnt 0x0
	v_add_f32_e32 v4, v5, v4
	ds_store_b32 v3, v4
.LBB0_15:
	s_or_b32 exec_lo, exec_lo, s3
	s_delay_alu instid0(SALU_CYCLE_1)
	s_mov_b32 s3, exec_lo
	;; [unrolled: 14-line block ×3, first 2 shown]
	s_wait_dscnt 0x0
	s_barrier_signal -1
	s_barrier_wait -1
	v_cmpx_gt_u32_e32 64, v0
	s_cbranch_execz .LBB0_19
; %bb.18:
	ds_load_2addr_stride64_b32 v[4:5], v3 offset1:1
	s_wait_dscnt 0x0
	v_add_f32_e32 v4, v5, v4
	ds_store_b32 v3, v4
.LBB0_19:
	s_or_b32 exec_lo, exec_lo, s3
	v_cmp_lt_u32_e64 s2, 31, v0
	v_cmp_gt_u32_e64 s3, 32, v0
	v_lshlrev_b32_e32 v0, 2, v1
	s_wait_dscnt 0x0
	s_barrier_signal -1
	s_barrier_wait -1
	s_and_saveexec_b32 s4, s3
	s_cbranch_execz .LBB0_21
; %bb.20:
	ds_load_b32 v1, v0 offset:128
	ds_load_b32 v4, v3
	s_wait_dscnt 0x0
	v_add_f32_e32 v1, v1, v4
	ds_store_b32 v3, v1
.LBB0_21:
	s_or_b32 exec_lo, exec_lo, s4
	s_nor_b32 s2, s2, vcc_lo
	s_delay_alu instid0(SALU_CYCLE_1)
	s_and_saveexec_b32 s3, s2
	s_cbranch_execz .LBB0_25
; %bb.22:
	s_load_b64 s[0:1], s[0:1], 0x40
	ds_load_b32 v0, v0
	s_cmp_eq_f32 s10, 0
	s_mov_b32 s2, 0
	s_cbranch_scc0 .LBB0_26
; %bb.23:
	s_wait_dscnt 0x0
	v_mul_f32_e32 v1, s8, v0
	s_wait_kmcnt 0x0
	global_store_b32 v2, v1, s[0:1] scale_offset
	s_and_not1_b32 vcc_lo, exec_lo, s2
	s_cbranch_vccnz .LBB0_25
.LBB0_24:
	s_wait_kmcnt 0x0
	global_load_b32 v1, v2, s[0:1] scale_offset
	s_wait_loadcnt 0x0
	v_mul_f32_e32 v1, s10, v1
	s_wait_dscnt 0x0
	s_delay_alu instid0(VALU_DEP_1)
	v_fmac_f32_e32 v1, s8, v0
	global_store_b32 v2, v1, s[0:1] scale_offset
.LBB0_25:
	s_endpgm
.LBB0_26:
	s_branch .LBB0_24
	.section	.rodata,"a",@progbits
	.p2align	6, 0x0
	.amdhsa_kernel _ZN9rocsparseL12gemvi_kernelILj1024ELj32EifEEvT1_S1_NS_24const_host_device_scalarIT2_EEPKS3_lS1_S6_PKS1_S4_PS3_21rocsparse_index_base_b
		.amdhsa_group_segment_fixed_size 4096
		.amdhsa_private_segment_fixed_size 0
		.amdhsa_kernarg_size 80
		.amdhsa_user_sgpr_count 2
		.amdhsa_user_sgpr_dispatch_ptr 0
		.amdhsa_user_sgpr_queue_ptr 0
		.amdhsa_user_sgpr_kernarg_segment_ptr 1
		.amdhsa_user_sgpr_dispatch_id 0
		.amdhsa_user_sgpr_kernarg_preload_length 0
		.amdhsa_user_sgpr_kernarg_preload_offset 0
		.amdhsa_user_sgpr_private_segment_size 0
		.amdhsa_wavefront_size32 1
		.amdhsa_uses_dynamic_stack 0
		.amdhsa_enable_private_segment 0
		.amdhsa_system_sgpr_workgroup_id_x 1
		.amdhsa_system_sgpr_workgroup_id_y 0
		.amdhsa_system_sgpr_workgroup_id_z 0
		.amdhsa_system_sgpr_workgroup_info 0
		.amdhsa_system_vgpr_workitem_id 0
		.amdhsa_next_free_vgpr 16
		.amdhsa_next_free_sgpr 20
		.amdhsa_named_barrier_count 0
		.amdhsa_reserve_vcc 1
		.amdhsa_float_round_mode_32 0
		.amdhsa_float_round_mode_16_64 0
		.amdhsa_float_denorm_mode_32 3
		.amdhsa_float_denorm_mode_16_64 3
		.amdhsa_fp16_overflow 0
		.amdhsa_memory_ordered 1
		.amdhsa_forward_progress 1
		.amdhsa_inst_pref_size 8
		.amdhsa_round_robin_scheduling 0
		.amdhsa_exception_fp_ieee_invalid_op 0
		.amdhsa_exception_fp_denorm_src 0
		.amdhsa_exception_fp_ieee_div_zero 0
		.amdhsa_exception_fp_ieee_overflow 0
		.amdhsa_exception_fp_ieee_underflow 0
		.amdhsa_exception_fp_ieee_inexact 0
		.amdhsa_exception_int_div_zero 0
	.end_amdhsa_kernel
	.section	.text._ZN9rocsparseL12gemvi_kernelILj1024ELj32EifEEvT1_S1_NS_24const_host_device_scalarIT2_EEPKS3_lS1_S6_PKS1_S4_PS3_21rocsparse_index_base_b,"axG",@progbits,_ZN9rocsparseL12gemvi_kernelILj1024ELj32EifEEvT1_S1_NS_24const_host_device_scalarIT2_EEPKS3_lS1_S6_PKS1_S4_PS3_21rocsparse_index_base_b,comdat
.Lfunc_end0:
	.size	_ZN9rocsparseL12gemvi_kernelILj1024ELj32EifEEvT1_S1_NS_24const_host_device_scalarIT2_EEPKS3_lS1_S6_PKS1_S4_PS3_21rocsparse_index_base_b, .Lfunc_end0-_ZN9rocsparseL12gemvi_kernelILj1024ELj32EifEEvT1_S1_NS_24const_host_device_scalarIT2_EEPKS3_lS1_S6_PKS1_S4_PS3_21rocsparse_index_base_b
                                        ; -- End function
	.set _ZN9rocsparseL12gemvi_kernelILj1024ELj32EifEEvT1_S1_NS_24const_host_device_scalarIT2_EEPKS3_lS1_S6_PKS1_S4_PS3_21rocsparse_index_base_b.num_vgpr, 16
	.set _ZN9rocsparseL12gemvi_kernelILj1024ELj32EifEEvT1_S1_NS_24const_host_device_scalarIT2_EEPKS3_lS1_S6_PKS1_S4_PS3_21rocsparse_index_base_b.num_agpr, 0
	.set _ZN9rocsparseL12gemvi_kernelILj1024ELj32EifEEvT1_S1_NS_24const_host_device_scalarIT2_EEPKS3_lS1_S6_PKS1_S4_PS3_21rocsparse_index_base_b.numbered_sgpr, 20
	.set _ZN9rocsparseL12gemvi_kernelILj1024ELj32EifEEvT1_S1_NS_24const_host_device_scalarIT2_EEPKS3_lS1_S6_PKS1_S4_PS3_21rocsparse_index_base_b.num_named_barrier, 0
	.set _ZN9rocsparseL12gemvi_kernelILj1024ELj32EifEEvT1_S1_NS_24const_host_device_scalarIT2_EEPKS3_lS1_S6_PKS1_S4_PS3_21rocsparse_index_base_b.private_seg_size, 0
	.set _ZN9rocsparseL12gemvi_kernelILj1024ELj32EifEEvT1_S1_NS_24const_host_device_scalarIT2_EEPKS3_lS1_S6_PKS1_S4_PS3_21rocsparse_index_base_b.uses_vcc, 1
	.set _ZN9rocsparseL12gemvi_kernelILj1024ELj32EifEEvT1_S1_NS_24const_host_device_scalarIT2_EEPKS3_lS1_S6_PKS1_S4_PS3_21rocsparse_index_base_b.uses_flat_scratch, 0
	.set _ZN9rocsparseL12gemvi_kernelILj1024ELj32EifEEvT1_S1_NS_24const_host_device_scalarIT2_EEPKS3_lS1_S6_PKS1_S4_PS3_21rocsparse_index_base_b.has_dyn_sized_stack, 0
	.set _ZN9rocsparseL12gemvi_kernelILj1024ELj32EifEEvT1_S1_NS_24const_host_device_scalarIT2_EEPKS3_lS1_S6_PKS1_S4_PS3_21rocsparse_index_base_b.has_recursion, 0
	.set _ZN9rocsparseL12gemvi_kernelILj1024ELj32EifEEvT1_S1_NS_24const_host_device_scalarIT2_EEPKS3_lS1_S6_PKS1_S4_PS3_21rocsparse_index_base_b.has_indirect_call, 0
	.section	.AMDGPU.csdata,"",@progbits
; Kernel info:
; codeLenInByte = 924
; TotalNumSgprs: 22
; NumVgprs: 16
; ScratchSize: 0
; MemoryBound: 0
; FloatMode: 240
; IeeeMode: 1
; LDSByteSize: 4096 bytes/workgroup (compile time only)
; SGPRBlocks: 0
; VGPRBlocks: 0
; NumSGPRsForWavesPerEU: 22
; NumVGPRsForWavesPerEU: 16
; NamedBarCnt: 0
; Occupancy: 16
; WaveLimiterHint : 1
; COMPUTE_PGM_RSRC2:SCRATCH_EN: 0
; COMPUTE_PGM_RSRC2:USER_SGPR: 2
; COMPUTE_PGM_RSRC2:TRAP_HANDLER: 0
; COMPUTE_PGM_RSRC2:TGID_X_EN: 1
; COMPUTE_PGM_RSRC2:TGID_Y_EN: 0
; COMPUTE_PGM_RSRC2:TGID_Z_EN: 0
; COMPUTE_PGM_RSRC2:TIDIG_COMP_CNT: 0
	.section	.text._ZN9rocsparseL12gemvi_kernelILj1024ELj64EifEEvT1_S1_NS_24const_host_device_scalarIT2_EEPKS3_lS1_S6_PKS1_S4_PS3_21rocsparse_index_base_b,"axG",@progbits,_ZN9rocsparseL12gemvi_kernelILj1024ELj64EifEEvT1_S1_NS_24const_host_device_scalarIT2_EEPKS3_lS1_S6_PKS1_S4_PS3_21rocsparse_index_base_b,comdat
	.globl	_ZN9rocsparseL12gemvi_kernelILj1024ELj64EifEEvT1_S1_NS_24const_host_device_scalarIT2_EEPKS3_lS1_S6_PKS1_S4_PS3_21rocsparse_index_base_b ; -- Begin function _ZN9rocsparseL12gemvi_kernelILj1024ELj64EifEEvT1_S1_NS_24const_host_device_scalarIT2_EEPKS3_lS1_S6_PKS1_S4_PS3_21rocsparse_index_base_b
	.p2align	8
	.type	_ZN9rocsparseL12gemvi_kernelILj1024ELj64EifEEvT1_S1_NS_24const_host_device_scalarIT2_EEPKS3_lS1_S6_PKS1_S4_PS3_21rocsparse_index_base_b,@function
_ZN9rocsparseL12gemvi_kernelILj1024ELj64EifEEvT1_S1_NS_24const_host_device_scalarIT2_EEPKS3_lS1_S6_PKS1_S4_PS3_21rocsparse_index_base_b: ; @_ZN9rocsparseL12gemvi_kernelILj1024ELj64EifEEvT1_S1_NS_24const_host_device_scalarIT2_EEPKS3_lS1_S6_PKS1_S4_PS3_21rocsparse_index_base_b
; %bb.0:
	s_clause 0x2
	s_load_b64 s[12:13], s[0:1], 0x48
	s_load_b64 s[8:9], s[0:1], 0x8
	;; [unrolled: 1-line block ×3, first 2 shown]
	s_wait_kmcnt 0x0
	s_bitcmp1_b32 s13, 0
	s_cselect_b32 s2, -1, 0
	s_delay_alu instid0(SALU_CYCLE_1)
	s_and_b32 vcc_lo, exec_lo, s2
	s_xor_b32 s2, s2, -1
	s_cbranch_vccnz .LBB1_2
; %bb.1:
	s_load_b32 s8, s[8:9], 0x0
.LBB1_2:
	s_and_not1_b32 vcc_lo, exec_lo, s2
	s_cbranch_vccnz .LBB1_4
; %bb.3:
	s_load_b32 s10, s[10:11], 0x0
.LBB1_4:
	s_wait_kmcnt 0x0
	s_cmp_neq_f32 s8, 0
	s_cselect_b32 s2, -1, 0
	s_cmp_neq_f32 s10, 1.0
	s_cselect_b32 s3, -1, 0
	s_delay_alu instid0(SALU_CYCLE_1) | instskip(NEXT) | instid1(SALU_CYCLE_1)
	s_or_b32 s2, s2, s3
	s_and_not1_b32 vcc_lo, exec_lo, s2
	s_cbranch_vccnz .LBB1_23
; %bb.5:
	s_load_b32 s2, s[0:1], 0x0
	s_bfe_u32 s3, ttmp6, 0x4000c
	s_and_b32 s4, ttmp6, 15
	s_add_co_i32 s3, s3, 1
	s_getreg_b32 s5, hwreg(HW_REG_IB_STS2, 6, 4)
	s_mul_i32 s3, ttmp9, s3
	v_dual_mov_b32 v5, 0 :: v_dual_bitop2_b32 v1, 63, v0 bitop3:0x40
	s_add_co_i32 s4, s4, s3
	s_cmp_eq_u32 s5, 0
	s_cselect_b32 s3, ttmp9, s4
	s_delay_alu instid0(VALU_DEP_1) | instid1(SALU_CYCLE_1)
	v_lshl_or_b32 v2, s3, 6, v1
	s_mov_b32 s3, exec_lo
	s_wait_kmcnt 0x0
	s_delay_alu instid0(VALU_DEP_1)
	v_cmp_le_i32_e32 vcc_lo, s2, v2
	v_cmpx_gt_i32_e64 s2, v2
	s_cbranch_execz .LBB1_11
; %bb.6:
	s_load_b32 s11, s[0:1], 0x20
	v_dual_mov_b32 v5, 0 :: v_dual_lshrrev_b32 v12, 6, v0
	s_mov_b32 s9, exec_lo
	s_wait_kmcnt 0x0
	s_delay_alu instid0(VALU_DEP_1)
	v_cmpx_gt_i32_e64 s11, v12
	s_cbranch_execz .LBB1_10
; %bb.7:
	s_clause 0x1
	s_load_b128 s[16:19], s[0:1], 0x28
	s_load_b128 s[4:7], s[0:1], 0x10
	v_dual_lshrrev_b32 v3, 4, v0 :: v_dual_mov_b32 v5, 0
	s_delay_alu instid0(VALU_DEP_1) | instskip(SKIP_1) | instid1(VALU_DEP_1)
	v_dual_ashrrev_i32 v3, 31, v2 :: v_dual_bitop2_b32 v4, 60, v3 bitop3:0x40
	s_wait_kmcnt 0x0
	v_add_nc_u64_e32 v[6:7], s[16:17], v[4:5]
	v_add_nc_u64_e32 v[8:9], s[18:19], v[4:5]
	s_delay_alu instid0(VALU_DEP_3)
	v_lshl_add_u64 v[10:11], v[2:3], 2, s[4:5]
	s_mov_b32 s4, 0
.LBB1_8:                                ; =>This Inner Loop Header: Depth=1
	global_load_b32 v3, v[8:9], off
	s_wait_xcnt 0x0
	v_add_nc_u64_e32 v[8:9], 64, v[8:9]
	v_add_nc_u32_e32 v12, 16, v12
	s_delay_alu instid0(VALU_DEP_1) | instskip(SKIP_3) | instid1(VALU_DEP_1)
	v_cmp_le_i32_e64 s2, s11, v12
	s_or_b32 s4, s2, s4
	s_wait_loadcnt 0x0
	v_subrev_nc_u32_e32 v14, s12, v3
	v_ashrrev_i32_e32 v15, 31, v14
	s_delay_alu instid0(VALU_DEP_1) | instskip(NEXT) | instid1(VALU_DEP_1)
	v_mul_u64_e32 v[14:15], s[6:7], v[14:15]
	v_lshl_add_u64 v[14:15], v[14:15], 2, v[10:11]
	global_load_b32 v3, v[6:7], off
	global_load_b32 v4, v[14:15], off
	s_wait_xcnt 0x1
	v_add_nc_u64_e32 v[6:7], 64, v[6:7]
	s_wait_loadcnt 0x0
	v_fmac_f32_e32 v5, v3, v4
	s_and_not1_b32 exec_lo, exec_lo, s4
	s_cbranch_execnz .LBB1_8
; %bb.9:
	s_or_b32 exec_lo, exec_lo, s4
.LBB1_10:
	s_delay_alu instid0(SALU_CYCLE_1)
	s_or_b32 exec_lo, exec_lo, s9
.LBB1_11:
	s_delay_alu instid0(SALU_CYCLE_1)
	s_or_b32 exec_lo, exec_lo, s3
	v_lshlrev_b32_e32 v3, 2, v0
	s_mov_b32 s3, exec_lo
	ds_store_b32 v3, v5
	s_wait_dscnt 0x0
	s_barrier_signal -1
	s_barrier_wait -1
	v_cmpx_gt_u32_e32 0x200, v0
	s_cbranch_execz .LBB1_13
; %bb.12:
	ds_load_2addr_stride64_b32 v[4:5], v3 offset1:8
	s_wait_dscnt 0x0
	v_add_f32_e32 v4, v5, v4
	ds_store_b32 v3, v4
.LBB1_13:
	s_or_b32 exec_lo, exec_lo, s3
	s_delay_alu instid0(SALU_CYCLE_1)
	s_mov_b32 s3, exec_lo
	s_wait_dscnt 0x0
	s_barrier_signal -1
	s_barrier_wait -1
	v_cmpx_gt_u32_e32 0x100, v0
	s_cbranch_execz .LBB1_15
; %bb.14:
	ds_load_2addr_stride64_b32 v[4:5], v3 offset1:4
	s_wait_dscnt 0x0
	v_add_f32_e32 v4, v5, v4
	ds_store_b32 v3, v4
.LBB1_15:
	s_or_b32 exec_lo, exec_lo, s3
	s_delay_alu instid0(SALU_CYCLE_1)
	s_mov_b32 s3, exec_lo
	s_wait_dscnt 0x0
	s_barrier_signal -1
	s_barrier_wait -1
	v_cmpx_gt_u32_e32 0x80, v0
	s_cbranch_execz .LBB1_17
; %bb.16:
	ds_load_2addr_stride64_b32 v[4:5], v3 offset1:2
	s_wait_dscnt 0x0
	v_add_f32_e32 v4, v5, v4
	ds_store_b32 v3, v4
.LBB1_17:
	s_or_b32 exec_lo, exec_lo, s3
	v_cmp_lt_u32_e64 s2, 63, v0
	v_cmp_gt_u32_e64 s3, 64, v0
	v_lshlrev_b32_e32 v0, 2, v1
	s_wait_dscnt 0x0
	s_barrier_signal -1
	s_barrier_wait -1
	s_and_saveexec_b32 s4, s3
	s_cbranch_execz .LBB1_19
; %bb.18:
	ds_load_b32 v1, v0 offset:256
	ds_load_b32 v4, v3
	s_wait_dscnt 0x0
	v_add_f32_e32 v1, v1, v4
	ds_store_b32 v3, v1
.LBB1_19:
	s_or_b32 exec_lo, exec_lo, s4
	s_nor_b32 s2, s2, vcc_lo
	s_delay_alu instid0(SALU_CYCLE_1)
	s_and_saveexec_b32 s3, s2
	s_cbranch_execz .LBB1_23
; %bb.20:
	s_load_b64 s[0:1], s[0:1], 0x40
	ds_load_b32 v0, v0
	s_cmp_eq_f32 s10, 0
	s_mov_b32 s2, 0
	s_cbranch_scc0 .LBB1_24
; %bb.21:
	s_wait_dscnt 0x0
	v_mul_f32_e32 v1, s8, v0
	s_wait_kmcnt 0x0
	global_store_b32 v2, v1, s[0:1] scale_offset
	s_and_not1_b32 vcc_lo, exec_lo, s2
	s_cbranch_vccnz .LBB1_23
.LBB1_22:
	s_wait_kmcnt 0x0
	global_load_b32 v1, v2, s[0:1] scale_offset
	s_wait_loadcnt 0x0
	v_mul_f32_e32 v1, s10, v1
	s_wait_dscnt 0x0
	s_delay_alu instid0(VALU_DEP_1)
	v_fmac_f32_e32 v1, s8, v0
	global_store_b32 v2, v1, s[0:1] scale_offset
.LBB1_23:
	s_endpgm
.LBB1_24:
	s_branch .LBB1_22
	.section	.rodata,"a",@progbits
	.p2align	6, 0x0
	.amdhsa_kernel _ZN9rocsparseL12gemvi_kernelILj1024ELj64EifEEvT1_S1_NS_24const_host_device_scalarIT2_EEPKS3_lS1_S6_PKS1_S4_PS3_21rocsparse_index_base_b
		.amdhsa_group_segment_fixed_size 4096
		.amdhsa_private_segment_fixed_size 0
		.amdhsa_kernarg_size 80
		.amdhsa_user_sgpr_count 2
		.amdhsa_user_sgpr_dispatch_ptr 0
		.amdhsa_user_sgpr_queue_ptr 0
		.amdhsa_user_sgpr_kernarg_segment_ptr 1
		.amdhsa_user_sgpr_dispatch_id 0
		.amdhsa_user_sgpr_kernarg_preload_length 0
		.amdhsa_user_sgpr_kernarg_preload_offset 0
		.amdhsa_user_sgpr_private_segment_size 0
		.amdhsa_wavefront_size32 1
		.amdhsa_uses_dynamic_stack 0
		.amdhsa_enable_private_segment 0
		.amdhsa_system_sgpr_workgroup_id_x 1
		.amdhsa_system_sgpr_workgroup_id_y 0
		.amdhsa_system_sgpr_workgroup_id_z 0
		.amdhsa_system_sgpr_workgroup_info 0
		.amdhsa_system_vgpr_workitem_id 0
		.amdhsa_next_free_vgpr 16
		.amdhsa_next_free_sgpr 20
		.amdhsa_named_barrier_count 0
		.amdhsa_reserve_vcc 1
		.amdhsa_float_round_mode_32 0
		.amdhsa_float_round_mode_16_64 0
		.amdhsa_float_denorm_mode_32 3
		.amdhsa_float_denorm_mode_16_64 3
		.amdhsa_fp16_overflow 0
		.amdhsa_memory_ordered 1
		.amdhsa_forward_progress 1
		.amdhsa_inst_pref_size 7
		.amdhsa_round_robin_scheduling 0
		.amdhsa_exception_fp_ieee_invalid_op 0
		.amdhsa_exception_fp_denorm_src 0
		.amdhsa_exception_fp_ieee_div_zero 0
		.amdhsa_exception_fp_ieee_overflow 0
		.amdhsa_exception_fp_ieee_underflow 0
		.amdhsa_exception_fp_ieee_inexact 0
		.amdhsa_exception_int_div_zero 0
	.end_amdhsa_kernel
	.section	.text._ZN9rocsparseL12gemvi_kernelILj1024ELj64EifEEvT1_S1_NS_24const_host_device_scalarIT2_EEPKS3_lS1_S6_PKS1_S4_PS3_21rocsparse_index_base_b,"axG",@progbits,_ZN9rocsparseL12gemvi_kernelILj1024ELj64EifEEvT1_S1_NS_24const_host_device_scalarIT2_EEPKS3_lS1_S6_PKS1_S4_PS3_21rocsparse_index_base_b,comdat
.Lfunc_end1:
	.size	_ZN9rocsparseL12gemvi_kernelILj1024ELj64EifEEvT1_S1_NS_24const_host_device_scalarIT2_EEPKS3_lS1_S6_PKS1_S4_PS3_21rocsparse_index_base_b, .Lfunc_end1-_ZN9rocsparseL12gemvi_kernelILj1024ELj64EifEEvT1_S1_NS_24const_host_device_scalarIT2_EEPKS3_lS1_S6_PKS1_S4_PS3_21rocsparse_index_base_b
                                        ; -- End function
	.set _ZN9rocsparseL12gemvi_kernelILj1024ELj64EifEEvT1_S1_NS_24const_host_device_scalarIT2_EEPKS3_lS1_S6_PKS1_S4_PS3_21rocsparse_index_base_b.num_vgpr, 16
	.set _ZN9rocsparseL12gemvi_kernelILj1024ELj64EifEEvT1_S1_NS_24const_host_device_scalarIT2_EEPKS3_lS1_S6_PKS1_S4_PS3_21rocsparse_index_base_b.num_agpr, 0
	.set _ZN9rocsparseL12gemvi_kernelILj1024ELj64EifEEvT1_S1_NS_24const_host_device_scalarIT2_EEPKS3_lS1_S6_PKS1_S4_PS3_21rocsparse_index_base_b.numbered_sgpr, 20
	.set _ZN9rocsparseL12gemvi_kernelILj1024ELj64EifEEvT1_S1_NS_24const_host_device_scalarIT2_EEPKS3_lS1_S6_PKS1_S4_PS3_21rocsparse_index_base_b.num_named_barrier, 0
	.set _ZN9rocsparseL12gemvi_kernelILj1024ELj64EifEEvT1_S1_NS_24const_host_device_scalarIT2_EEPKS3_lS1_S6_PKS1_S4_PS3_21rocsparse_index_base_b.private_seg_size, 0
	.set _ZN9rocsparseL12gemvi_kernelILj1024ELj64EifEEvT1_S1_NS_24const_host_device_scalarIT2_EEPKS3_lS1_S6_PKS1_S4_PS3_21rocsparse_index_base_b.uses_vcc, 1
	.set _ZN9rocsparseL12gemvi_kernelILj1024ELj64EifEEvT1_S1_NS_24const_host_device_scalarIT2_EEPKS3_lS1_S6_PKS1_S4_PS3_21rocsparse_index_base_b.uses_flat_scratch, 0
	.set _ZN9rocsparseL12gemvi_kernelILj1024ELj64EifEEvT1_S1_NS_24const_host_device_scalarIT2_EEPKS3_lS1_S6_PKS1_S4_PS3_21rocsparse_index_base_b.has_dyn_sized_stack, 0
	.set _ZN9rocsparseL12gemvi_kernelILj1024ELj64EifEEvT1_S1_NS_24const_host_device_scalarIT2_EEPKS3_lS1_S6_PKS1_S4_PS3_21rocsparse_index_base_b.has_recursion, 0
	.set _ZN9rocsparseL12gemvi_kernelILj1024ELj64EifEEvT1_S1_NS_24const_host_device_scalarIT2_EEPKS3_lS1_S6_PKS1_S4_PS3_21rocsparse_index_base_b.has_indirect_call, 0
	.section	.AMDGPU.csdata,"",@progbits
; Kernel info:
; codeLenInByte = 860
; TotalNumSgprs: 22
; NumVgprs: 16
; ScratchSize: 0
; MemoryBound: 0
; FloatMode: 240
; IeeeMode: 1
; LDSByteSize: 4096 bytes/workgroup (compile time only)
; SGPRBlocks: 0
; VGPRBlocks: 0
; NumSGPRsForWavesPerEU: 22
; NumVGPRsForWavesPerEU: 16
; NamedBarCnt: 0
; Occupancy: 16
; WaveLimiterHint : 1
; COMPUTE_PGM_RSRC2:SCRATCH_EN: 0
; COMPUTE_PGM_RSRC2:USER_SGPR: 2
; COMPUTE_PGM_RSRC2:TRAP_HANDLER: 0
; COMPUTE_PGM_RSRC2:TGID_X_EN: 1
; COMPUTE_PGM_RSRC2:TGID_Y_EN: 0
; COMPUTE_PGM_RSRC2:TGID_Z_EN: 0
; COMPUTE_PGM_RSRC2:TIDIG_COMP_CNT: 0
	.section	.text._ZN9rocsparseL12gemvi_kernelILj1024ELj32EidEEvT1_S1_NS_24const_host_device_scalarIT2_EEPKS3_lS1_S6_PKS1_S4_PS3_21rocsparse_index_base_b,"axG",@progbits,_ZN9rocsparseL12gemvi_kernelILj1024ELj32EidEEvT1_S1_NS_24const_host_device_scalarIT2_EEPKS3_lS1_S6_PKS1_S4_PS3_21rocsparse_index_base_b,comdat
	.globl	_ZN9rocsparseL12gemvi_kernelILj1024ELj32EidEEvT1_S1_NS_24const_host_device_scalarIT2_EEPKS3_lS1_S6_PKS1_S4_PS3_21rocsparse_index_base_b ; -- Begin function _ZN9rocsparseL12gemvi_kernelILj1024ELj32EidEEvT1_S1_NS_24const_host_device_scalarIT2_EEPKS3_lS1_S6_PKS1_S4_PS3_21rocsparse_index_base_b
	.p2align	8
	.type	_ZN9rocsparseL12gemvi_kernelILj1024ELj32EidEEvT1_S1_NS_24const_host_device_scalarIT2_EEPKS3_lS1_S6_PKS1_S4_PS3_21rocsparse_index_base_b,@function
_ZN9rocsparseL12gemvi_kernelILj1024ELj32EidEEvT1_S1_NS_24const_host_device_scalarIT2_EEPKS3_lS1_S6_PKS1_S4_PS3_21rocsparse_index_base_b: ; @_ZN9rocsparseL12gemvi_kernelILj1024ELj32EidEEvT1_S1_NS_24const_host_device_scalarIT2_EEPKS3_lS1_S6_PKS1_S4_PS3_21rocsparse_index_base_b
; %bb.0:
	s_clause 0x2
	s_load_b64 s[8:9], s[0:1], 0x48
	s_load_b64 s[4:5], s[0:1], 0x8
	;; [unrolled: 1-line block ×3, first 2 shown]
	s_wait_kmcnt 0x0
	s_bitcmp1_b32 s9, 0
	v_mov_b64_e32 v[2:3], s[4:5]
	s_cselect_b32 s6, -1, 0
	s_delay_alu instid0(SALU_CYCLE_1)
	s_and_b32 vcc_lo, exec_lo, s6
	s_xor_b32 s6, s6, -1
	s_cbranch_vccnz .LBB2_2
; %bb.1:
	v_mov_b32_e32 v1, 0
	flat_load_b64 v[2:3], v1, s[4:5]
.LBB2_2:
	v_mov_b64_e32 v[4:5], s[2:3]
	s_and_not1_b32 vcc_lo, exec_lo, s6
	s_cbranch_vccnz .LBB2_4
; %bb.3:
	s_wait_xcnt 0x0
	v_mov_b32_e32 v1, 0
	flat_load_b64 v[4:5], v1, s[2:3]
.LBB2_4:
	s_wait_loadcnt_dscnt 0x0
	v_cmp_neq_f64_e32 vcc_lo, 0, v[2:3]
	s_delay_alu instid0(VALU_DEP_2) | instskip(SKIP_1) | instid1(SALU_CYCLE_1)
	v_cmp_neq_f64_e64 s2, 1.0, v[4:5]
	s_or_b32 s2, vcc_lo, s2
	s_and_saveexec_b32 s3, s2
	s_cbranch_execz .LBB2_26
; %bb.5:
	s_load_b32 s2, s[0:1], 0x0
	s_bfe_u32 s3, ttmp6, 0x4000c
	s_and_b32 s4, ttmp6, 15
	s_add_co_i32 s3, s3, 1
	s_getreg_b32 s5, hwreg(HW_REG_IB_STS2, 6, 4)
	s_mul_i32 s3, ttmp9, s3
	v_and_b32_e32 v1, 31, v0
	s_add_co_i32 s4, s4, s3
	s_cmp_eq_u32 s5, 0
	v_mov_b64_e32 v[8:9], 0
	s_cselect_b32 s3, ttmp9, s4
	s_delay_alu instid0(SALU_CYCLE_1) | instskip(SKIP_2) | instid1(VALU_DEP_1)
	v_lshl_or_b32 v6, s3, 5, v1
	s_mov_b32 s3, exec_lo
	s_wait_kmcnt 0x0
	v_cmp_le_i32_e32 vcc_lo, s2, v6
	v_cmpx_gt_i32_e64 s2, v6
	s_cbranch_execz .LBB2_11
; %bb.6:
	s_load_b32 s9, s[0:1], 0x20
	v_mov_b64_e32 v[8:9], 0
	v_lshrrev_b32_e32 v16, 5, v0
	s_mov_b32 s10, exec_lo
	s_wait_kmcnt 0x0
	s_delay_alu instid0(VALU_DEP_1)
	v_cmpx_gt_i32_e64 s9, v16
	s_cbranch_execz .LBB2_10
; %bb.7:
	s_clause 0x1
	s_load_b128 s[12:15], s[0:1], 0x28
	s_load_b128 s[4:7], s[0:1], 0x10
	v_dual_lshrrev_b32 v7, 5, v0 :: v_dual_mov_b32 v9, 0
	s_delay_alu instid0(VALU_DEP_1) | instskip(SKIP_1) | instid1(VALU_DEP_1)
	v_lshlrev_b32_e32 v8, 3, v7
	s_wait_kmcnt 0x0
	v_add_nc_u64_e32 v[10:11], s[12:13], v[8:9]
	v_dual_lshlrev_b32 v8, 2, v7 :: v_dual_ashrrev_i32 v7, 31, v6
	s_delay_alu instid0(VALU_DEP_1) | instskip(SKIP_1) | instid1(VALU_DEP_3)
	v_add_nc_u64_e32 v[12:13], s[14:15], v[8:9]
	v_mov_b64_e32 v[8:9], 0
	v_lshl_add_u64 v[14:15], v[6:7], 3, s[4:5]
	s_mov_b32 s4, 0
.LBB2_8:                                ; =>This Inner Loop Header: Depth=1
	global_load_b32 v7, v[12:13], off
	s_wait_xcnt 0x0
	v_add_nc_u64_e32 v[12:13], 0x80, v[12:13]
	v_add_nc_u32_e32 v16, 32, v16
	s_delay_alu instid0(VALU_DEP_1) | instskip(SKIP_3) | instid1(VALU_DEP_1)
	v_cmp_le_i32_e64 s2, s9, v16
	s_or_b32 s4, s2, s4
	s_wait_loadcnt 0x0
	v_subrev_nc_u32_e32 v18, s8, v7
	v_ashrrev_i32_e32 v19, 31, v18
	s_delay_alu instid0(VALU_DEP_1) | instskip(NEXT) | instid1(VALU_DEP_1)
	v_mul_u64_e32 v[18:19], s[6:7], v[18:19]
	v_lshl_add_u64 v[18:19], v[18:19], 3, v[14:15]
	global_load_b64 v[20:21], v[10:11], off
	global_load_b64 v[22:23], v[18:19], off
	s_wait_xcnt 0x1
	v_add_nc_u64_e32 v[10:11], 0x100, v[10:11]
	s_wait_loadcnt 0x0
	v_fmac_f64_e32 v[8:9], v[20:21], v[22:23]
	s_and_not1_b32 exec_lo, exec_lo, s4
	s_cbranch_execnz .LBB2_8
; %bb.9:
	s_or_b32 exec_lo, exec_lo, s4
.LBB2_10:
	s_delay_alu instid0(SALU_CYCLE_1)
	s_or_b32 exec_lo, exec_lo, s10
.LBB2_11:
	s_delay_alu instid0(SALU_CYCLE_1)
	s_or_b32 exec_lo, exec_lo, s3
	v_lshlrev_b32_e32 v7, 3, v0
	s_mov_b32 s3, exec_lo
	ds_store_b64 v7, v[8:9]
	s_wait_dscnt 0x0
	s_barrier_signal -1
	s_barrier_wait -1
	v_cmpx_gt_u32_e32 0x200, v0
	s_cbranch_execz .LBB2_13
; %bb.12:
	ds_load_2addr_stride64_b64 v[8:11], v7 offset1:8
	s_wait_dscnt 0x0
	v_add_f64_e32 v[8:9], v[10:11], v[8:9]
	ds_store_b64 v7, v[8:9]
.LBB2_13:
	s_or_b32 exec_lo, exec_lo, s3
	s_delay_alu instid0(SALU_CYCLE_1)
	s_mov_b32 s3, exec_lo
	s_wait_dscnt 0x0
	s_barrier_signal -1
	s_barrier_wait -1
	v_cmpx_gt_u32_e32 0x100, v0
	s_cbranch_execz .LBB2_15
; %bb.14:
	ds_load_2addr_stride64_b64 v[8:11], v7 offset1:4
	s_wait_dscnt 0x0
	v_add_f64_e32 v[8:9], v[10:11], v[8:9]
	ds_store_b64 v7, v[8:9]
.LBB2_15:
	s_or_b32 exec_lo, exec_lo, s3
	s_delay_alu instid0(SALU_CYCLE_1)
	s_mov_b32 s3, exec_lo
	s_wait_dscnt 0x0
	s_barrier_signal -1
	s_barrier_wait -1
	v_cmpx_gt_u32_e32 0x80, v0
	s_cbranch_execz .LBB2_17
; %bb.16:
	ds_load_2addr_stride64_b64 v[8:11], v7 offset1:2
	s_wait_dscnt 0x0
	v_add_f64_e32 v[8:9], v[10:11], v[8:9]
	ds_store_b64 v7, v[8:9]
.LBB2_17:
	s_or_b32 exec_lo, exec_lo, s3
	s_delay_alu instid0(SALU_CYCLE_1)
	s_mov_b32 s3, exec_lo
	s_wait_dscnt 0x0
	s_barrier_signal -1
	s_barrier_wait -1
	v_cmpx_gt_u32_e32 64, v0
	s_cbranch_execz .LBB2_19
; %bb.18:
	ds_load_2addr_stride64_b64 v[8:11], v7 offset1:1
	s_wait_dscnt 0x0
	v_add_f64_e32 v[8:9], v[10:11], v[8:9]
	ds_store_b64 v7, v[8:9]
.LBB2_19:
	s_or_b32 exec_lo, exec_lo, s3
	v_cmp_lt_u32_e64 s2, 31, v0
	v_cmp_gt_u32_e64 s3, 32, v0
	v_lshlrev_b32_e32 v0, 3, v1
	s_wait_dscnt 0x0
	s_barrier_signal -1
	s_barrier_wait -1
	s_and_saveexec_b32 s4, s3
	s_cbranch_execz .LBB2_21
; %bb.20:
	ds_load_b64 v[8:9], v0 offset:256
	ds_load_b64 v[10:11], v7
	s_wait_dscnt 0x0
	v_add_f64_e32 v[8:9], v[8:9], v[10:11]
	ds_store_b64 v7, v[8:9]
.LBB2_21:
	s_or_b32 exec_lo, exec_lo, s4
	s_nor_b32 s2, s2, vcc_lo
	s_delay_alu instid0(SALU_CYCLE_1)
	s_and_b32 exec_lo, exec_lo, s2
	s_cbranch_execz .LBB2_26
; %bb.22:
	s_load_b64 s[0:1], s[0:1], 0x40
	ds_load_b64 v[0:1], v0
	s_mov_b32 s2, exec_lo
	v_cmpx_eq_f64_e32 0, v[4:5]
	s_xor_b32 s2, exec_lo, s2
	s_cbranch_execz .LBB2_24
; %bb.23:
	s_wait_dscnt 0x0
	v_mul_f64_e32 v[0:1], v[2:3], v[0:1]
                                        ; implicit-def: $vgpr4_vgpr5
                                        ; implicit-def: $vgpr2_vgpr3
	s_wait_kmcnt 0x0
	global_store_b64 v6, v[0:1], s[0:1] scale_offset
                                        ; implicit-def: $vgpr6
                                        ; implicit-def: $vgpr0_vgpr1
.LBB2_24:
	s_wait_xcnt 0x0
	s_and_not1_saveexec_b32 s2, s2
	s_cbranch_execz .LBB2_26
; %bb.25:
	s_wait_kmcnt 0x0
	global_load_b64 v[8:9], v6, s[0:1] scale_offset
	s_wait_loadcnt 0x0
	v_mul_f64_e32 v[4:5], v[4:5], v[8:9]
	s_wait_dscnt 0x0
	s_delay_alu instid0(VALU_DEP_1)
	v_fmac_f64_e32 v[4:5], v[2:3], v[0:1]
	global_store_b64 v6, v[4:5], s[0:1] scale_offset
.LBB2_26:
	s_endpgm
	.section	.rodata,"a",@progbits
	.p2align	6, 0x0
	.amdhsa_kernel _ZN9rocsparseL12gemvi_kernelILj1024ELj32EidEEvT1_S1_NS_24const_host_device_scalarIT2_EEPKS3_lS1_S6_PKS1_S4_PS3_21rocsparse_index_base_b
		.amdhsa_group_segment_fixed_size 8192
		.amdhsa_private_segment_fixed_size 0
		.amdhsa_kernarg_size 80
		.amdhsa_user_sgpr_count 2
		.amdhsa_user_sgpr_dispatch_ptr 0
		.amdhsa_user_sgpr_queue_ptr 0
		.amdhsa_user_sgpr_kernarg_segment_ptr 1
		.amdhsa_user_sgpr_dispatch_id 0
		.amdhsa_user_sgpr_kernarg_preload_length 0
		.amdhsa_user_sgpr_kernarg_preload_offset 0
		.amdhsa_user_sgpr_private_segment_size 0
		.amdhsa_wavefront_size32 1
		.amdhsa_uses_dynamic_stack 0
		.amdhsa_enable_private_segment 0
		.amdhsa_system_sgpr_workgroup_id_x 1
		.amdhsa_system_sgpr_workgroup_id_y 0
		.amdhsa_system_sgpr_workgroup_id_z 0
		.amdhsa_system_sgpr_workgroup_info 0
		.amdhsa_system_vgpr_workitem_id 0
		.amdhsa_next_free_vgpr 24
		.amdhsa_next_free_sgpr 16
		.amdhsa_named_barrier_count 0
		.amdhsa_reserve_vcc 1
		.amdhsa_float_round_mode_32 0
		.amdhsa_float_round_mode_16_64 0
		.amdhsa_float_denorm_mode_32 3
		.amdhsa_float_denorm_mode_16_64 3
		.amdhsa_fp16_overflow 0
		.amdhsa_memory_ordered 1
		.amdhsa_forward_progress 1
		.amdhsa_inst_pref_size 8
		.amdhsa_round_robin_scheduling 0
		.amdhsa_exception_fp_ieee_invalid_op 0
		.amdhsa_exception_fp_denorm_src 0
		.amdhsa_exception_fp_ieee_div_zero 0
		.amdhsa_exception_fp_ieee_overflow 0
		.amdhsa_exception_fp_ieee_underflow 0
		.amdhsa_exception_fp_ieee_inexact 0
		.amdhsa_exception_int_div_zero 0
	.end_amdhsa_kernel
	.section	.text._ZN9rocsparseL12gemvi_kernelILj1024ELj32EidEEvT1_S1_NS_24const_host_device_scalarIT2_EEPKS3_lS1_S6_PKS1_S4_PS3_21rocsparse_index_base_b,"axG",@progbits,_ZN9rocsparseL12gemvi_kernelILj1024ELj32EidEEvT1_S1_NS_24const_host_device_scalarIT2_EEPKS3_lS1_S6_PKS1_S4_PS3_21rocsparse_index_base_b,comdat
.Lfunc_end2:
	.size	_ZN9rocsparseL12gemvi_kernelILj1024ELj32EidEEvT1_S1_NS_24const_host_device_scalarIT2_EEPKS3_lS1_S6_PKS1_S4_PS3_21rocsparse_index_base_b, .Lfunc_end2-_ZN9rocsparseL12gemvi_kernelILj1024ELj32EidEEvT1_S1_NS_24const_host_device_scalarIT2_EEPKS3_lS1_S6_PKS1_S4_PS3_21rocsparse_index_base_b
                                        ; -- End function
	.set _ZN9rocsparseL12gemvi_kernelILj1024ELj32EidEEvT1_S1_NS_24const_host_device_scalarIT2_EEPKS3_lS1_S6_PKS1_S4_PS3_21rocsparse_index_base_b.num_vgpr, 24
	.set _ZN9rocsparseL12gemvi_kernelILj1024ELj32EidEEvT1_S1_NS_24const_host_device_scalarIT2_EEPKS3_lS1_S6_PKS1_S4_PS3_21rocsparse_index_base_b.num_agpr, 0
	.set _ZN9rocsparseL12gemvi_kernelILj1024ELj32EidEEvT1_S1_NS_24const_host_device_scalarIT2_EEPKS3_lS1_S6_PKS1_S4_PS3_21rocsparse_index_base_b.numbered_sgpr, 16
	.set _ZN9rocsparseL12gemvi_kernelILj1024ELj32EidEEvT1_S1_NS_24const_host_device_scalarIT2_EEPKS3_lS1_S6_PKS1_S4_PS3_21rocsparse_index_base_b.num_named_barrier, 0
	.set _ZN9rocsparseL12gemvi_kernelILj1024ELj32EidEEvT1_S1_NS_24const_host_device_scalarIT2_EEPKS3_lS1_S6_PKS1_S4_PS3_21rocsparse_index_base_b.private_seg_size, 0
	.set _ZN9rocsparseL12gemvi_kernelILj1024ELj32EidEEvT1_S1_NS_24const_host_device_scalarIT2_EEPKS3_lS1_S6_PKS1_S4_PS3_21rocsparse_index_base_b.uses_vcc, 1
	.set _ZN9rocsparseL12gemvi_kernelILj1024ELj32EidEEvT1_S1_NS_24const_host_device_scalarIT2_EEPKS3_lS1_S6_PKS1_S4_PS3_21rocsparse_index_base_b.uses_flat_scratch, 0
	.set _ZN9rocsparseL12gemvi_kernelILj1024ELj32EidEEvT1_S1_NS_24const_host_device_scalarIT2_EEPKS3_lS1_S6_PKS1_S4_PS3_21rocsparse_index_base_b.has_dyn_sized_stack, 0
	.set _ZN9rocsparseL12gemvi_kernelILj1024ELj32EidEEvT1_S1_NS_24const_host_device_scalarIT2_EEPKS3_lS1_S6_PKS1_S4_PS3_21rocsparse_index_base_b.has_recursion, 0
	.set _ZN9rocsparseL12gemvi_kernelILj1024ELj32EidEEvT1_S1_NS_24const_host_device_scalarIT2_EEPKS3_lS1_S6_PKS1_S4_PS3_21rocsparse_index_base_b.has_indirect_call, 0
	.section	.AMDGPU.csdata,"",@progbits
; Kernel info:
; codeLenInByte = 952
; TotalNumSgprs: 18
; NumVgprs: 24
; ScratchSize: 0
; MemoryBound: 0
; FloatMode: 240
; IeeeMode: 1
; LDSByteSize: 8192 bytes/workgroup (compile time only)
; SGPRBlocks: 0
; VGPRBlocks: 1
; NumSGPRsForWavesPerEU: 18
; NumVGPRsForWavesPerEU: 24
; NamedBarCnt: 0
; Occupancy: 16
; WaveLimiterHint : 1
; COMPUTE_PGM_RSRC2:SCRATCH_EN: 0
; COMPUTE_PGM_RSRC2:USER_SGPR: 2
; COMPUTE_PGM_RSRC2:TRAP_HANDLER: 0
; COMPUTE_PGM_RSRC2:TGID_X_EN: 1
; COMPUTE_PGM_RSRC2:TGID_Y_EN: 0
; COMPUTE_PGM_RSRC2:TGID_Z_EN: 0
; COMPUTE_PGM_RSRC2:TIDIG_COMP_CNT: 0
	.section	.text._ZN9rocsparseL12gemvi_kernelILj1024ELj64EidEEvT1_S1_NS_24const_host_device_scalarIT2_EEPKS3_lS1_S6_PKS1_S4_PS3_21rocsparse_index_base_b,"axG",@progbits,_ZN9rocsparseL12gemvi_kernelILj1024ELj64EidEEvT1_S1_NS_24const_host_device_scalarIT2_EEPKS3_lS1_S6_PKS1_S4_PS3_21rocsparse_index_base_b,comdat
	.globl	_ZN9rocsparseL12gemvi_kernelILj1024ELj64EidEEvT1_S1_NS_24const_host_device_scalarIT2_EEPKS3_lS1_S6_PKS1_S4_PS3_21rocsparse_index_base_b ; -- Begin function _ZN9rocsparseL12gemvi_kernelILj1024ELj64EidEEvT1_S1_NS_24const_host_device_scalarIT2_EEPKS3_lS1_S6_PKS1_S4_PS3_21rocsparse_index_base_b
	.p2align	8
	.type	_ZN9rocsparseL12gemvi_kernelILj1024ELj64EidEEvT1_S1_NS_24const_host_device_scalarIT2_EEPKS3_lS1_S6_PKS1_S4_PS3_21rocsparse_index_base_b,@function
_ZN9rocsparseL12gemvi_kernelILj1024ELj64EidEEvT1_S1_NS_24const_host_device_scalarIT2_EEPKS3_lS1_S6_PKS1_S4_PS3_21rocsparse_index_base_b: ; @_ZN9rocsparseL12gemvi_kernelILj1024ELj64EidEEvT1_S1_NS_24const_host_device_scalarIT2_EEPKS3_lS1_S6_PKS1_S4_PS3_21rocsparse_index_base_b
; %bb.0:
	s_clause 0x2
	s_load_b64 s[8:9], s[0:1], 0x48
	s_load_b64 s[4:5], s[0:1], 0x8
	;; [unrolled: 1-line block ×3, first 2 shown]
	s_wait_kmcnt 0x0
	s_bitcmp1_b32 s9, 0
	v_mov_b64_e32 v[2:3], s[4:5]
	s_cselect_b32 s6, -1, 0
	s_delay_alu instid0(SALU_CYCLE_1)
	s_and_b32 vcc_lo, exec_lo, s6
	s_xor_b32 s6, s6, -1
	s_cbranch_vccnz .LBB3_2
; %bb.1:
	v_mov_b32_e32 v1, 0
	flat_load_b64 v[2:3], v1, s[4:5]
.LBB3_2:
	v_mov_b64_e32 v[4:5], s[2:3]
	s_and_not1_b32 vcc_lo, exec_lo, s6
	s_cbranch_vccnz .LBB3_4
; %bb.3:
	s_wait_xcnt 0x0
	v_mov_b32_e32 v1, 0
	flat_load_b64 v[4:5], v1, s[2:3]
.LBB3_4:
	s_wait_loadcnt_dscnt 0x0
	v_cmp_neq_f64_e32 vcc_lo, 0, v[2:3]
	s_delay_alu instid0(VALU_DEP_2) | instskip(SKIP_1) | instid1(SALU_CYCLE_1)
	v_cmp_neq_f64_e64 s2, 1.0, v[4:5]
	s_or_b32 s2, vcc_lo, s2
	s_and_saveexec_b32 s3, s2
	s_cbranch_execz .LBB3_24
; %bb.5:
	s_load_b32 s2, s[0:1], 0x0
	s_bfe_u32 s3, ttmp6, 0x4000c
	s_and_b32 s4, ttmp6, 15
	s_add_co_i32 s3, s3, 1
	s_getreg_b32 s5, hwreg(HW_REG_IB_STS2, 6, 4)
	s_mul_i32 s3, ttmp9, s3
	v_and_b32_e32 v1, 63, v0
	s_add_co_i32 s4, s4, s3
	s_cmp_eq_u32 s5, 0
	v_mov_b64_e32 v[8:9], 0
	s_cselect_b32 s3, ttmp9, s4
	s_delay_alu instid0(SALU_CYCLE_1) | instskip(SKIP_2) | instid1(VALU_DEP_1)
	v_lshl_or_b32 v6, s3, 6, v1
	s_mov_b32 s3, exec_lo
	s_wait_kmcnt 0x0
	v_cmp_le_i32_e32 vcc_lo, s2, v6
	v_cmpx_gt_i32_e64 s2, v6
	s_cbranch_execz .LBB3_11
; %bb.6:
	s_load_b32 s9, s[0:1], 0x20
	v_mov_b64_e32 v[8:9], 0
	v_lshrrev_b32_e32 v16, 6, v0
	s_mov_b32 s10, exec_lo
	s_wait_kmcnt 0x0
	s_delay_alu instid0(VALU_DEP_1)
	v_cmpx_gt_i32_e64 s9, v16
	s_cbranch_execz .LBB3_10
; %bb.7:
	s_clause 0x1
	s_load_b128 s[12:15], s[0:1], 0x28
	s_load_b128 s[4:7], s[0:1], 0x10
	v_dual_lshrrev_b32 v7, 6, v0 :: v_dual_mov_b32 v9, 0
	s_delay_alu instid0(VALU_DEP_1) | instskip(SKIP_1) | instid1(VALU_DEP_1)
	v_lshlrev_b32_e32 v8, 3, v7
	s_wait_kmcnt 0x0
	v_add_nc_u64_e32 v[10:11], s[12:13], v[8:9]
	v_dual_lshlrev_b32 v8, 2, v7 :: v_dual_ashrrev_i32 v7, 31, v6
	s_delay_alu instid0(VALU_DEP_1) | instskip(SKIP_1) | instid1(VALU_DEP_3)
	v_add_nc_u64_e32 v[12:13], s[14:15], v[8:9]
	v_mov_b64_e32 v[8:9], 0
	v_lshl_add_u64 v[14:15], v[6:7], 3, s[4:5]
	s_mov_b32 s4, 0
.LBB3_8:                                ; =>This Inner Loop Header: Depth=1
	global_load_b32 v7, v[12:13], off
	s_wait_xcnt 0x0
	v_add_nc_u64_e32 v[12:13], 64, v[12:13]
	v_add_nc_u32_e32 v16, 16, v16
	s_delay_alu instid0(VALU_DEP_1) | instskip(SKIP_3) | instid1(VALU_DEP_1)
	v_cmp_le_i32_e64 s2, s9, v16
	s_or_b32 s4, s2, s4
	s_wait_loadcnt 0x0
	v_subrev_nc_u32_e32 v18, s8, v7
	v_ashrrev_i32_e32 v19, 31, v18
	s_delay_alu instid0(VALU_DEP_1) | instskip(NEXT) | instid1(VALU_DEP_1)
	v_mul_u64_e32 v[18:19], s[6:7], v[18:19]
	v_lshl_add_u64 v[18:19], v[18:19], 3, v[14:15]
	global_load_b64 v[20:21], v[10:11], off
	global_load_b64 v[22:23], v[18:19], off
	s_wait_xcnt 0x1
	v_add_nc_u64_e32 v[10:11], 0x80, v[10:11]
	s_wait_loadcnt 0x0
	v_fmac_f64_e32 v[8:9], v[20:21], v[22:23]
	s_and_not1_b32 exec_lo, exec_lo, s4
	s_cbranch_execnz .LBB3_8
; %bb.9:
	s_or_b32 exec_lo, exec_lo, s4
.LBB3_10:
	s_delay_alu instid0(SALU_CYCLE_1)
	s_or_b32 exec_lo, exec_lo, s10
.LBB3_11:
	s_delay_alu instid0(SALU_CYCLE_1)
	s_or_b32 exec_lo, exec_lo, s3
	v_lshlrev_b32_e32 v7, 3, v0
	s_mov_b32 s3, exec_lo
	ds_store_b64 v7, v[8:9]
	s_wait_dscnt 0x0
	s_barrier_signal -1
	s_barrier_wait -1
	v_cmpx_gt_u32_e32 0x200, v0
	s_cbranch_execz .LBB3_13
; %bb.12:
	ds_load_2addr_stride64_b64 v[8:11], v7 offset1:8
	s_wait_dscnt 0x0
	v_add_f64_e32 v[8:9], v[10:11], v[8:9]
	ds_store_b64 v7, v[8:9]
.LBB3_13:
	s_or_b32 exec_lo, exec_lo, s3
	s_delay_alu instid0(SALU_CYCLE_1)
	s_mov_b32 s3, exec_lo
	s_wait_dscnt 0x0
	s_barrier_signal -1
	s_barrier_wait -1
	v_cmpx_gt_u32_e32 0x100, v0
	s_cbranch_execz .LBB3_15
; %bb.14:
	ds_load_2addr_stride64_b64 v[8:11], v7 offset1:4
	s_wait_dscnt 0x0
	v_add_f64_e32 v[8:9], v[10:11], v[8:9]
	ds_store_b64 v7, v[8:9]
.LBB3_15:
	s_or_b32 exec_lo, exec_lo, s3
	s_delay_alu instid0(SALU_CYCLE_1)
	s_mov_b32 s3, exec_lo
	s_wait_dscnt 0x0
	s_barrier_signal -1
	s_barrier_wait -1
	v_cmpx_gt_u32_e32 0x80, v0
	s_cbranch_execz .LBB3_17
; %bb.16:
	ds_load_2addr_stride64_b64 v[8:11], v7 offset1:2
	s_wait_dscnt 0x0
	v_add_f64_e32 v[8:9], v[10:11], v[8:9]
	ds_store_b64 v7, v[8:9]
.LBB3_17:
	s_or_b32 exec_lo, exec_lo, s3
	v_cmp_lt_u32_e64 s2, 63, v0
	v_cmp_gt_u32_e64 s3, 64, v0
	v_lshlrev_b32_e32 v0, 3, v1
	s_wait_dscnt 0x0
	s_barrier_signal -1
	s_barrier_wait -1
	s_and_saveexec_b32 s4, s3
	s_cbranch_execz .LBB3_19
; %bb.18:
	ds_load_b64 v[8:9], v0 offset:512
	ds_load_b64 v[10:11], v7
	s_wait_dscnt 0x0
	v_add_f64_e32 v[8:9], v[8:9], v[10:11]
	ds_store_b64 v7, v[8:9]
.LBB3_19:
	s_or_b32 exec_lo, exec_lo, s4
	s_nor_b32 s2, s2, vcc_lo
	s_delay_alu instid0(SALU_CYCLE_1)
	s_and_b32 exec_lo, exec_lo, s2
	s_cbranch_execz .LBB3_24
; %bb.20:
	s_load_b64 s[0:1], s[0:1], 0x40
	ds_load_b64 v[0:1], v0
	s_mov_b32 s2, exec_lo
	v_cmpx_eq_f64_e32 0, v[4:5]
	s_xor_b32 s2, exec_lo, s2
	s_cbranch_execz .LBB3_22
; %bb.21:
	s_wait_dscnt 0x0
	v_mul_f64_e32 v[0:1], v[2:3], v[0:1]
                                        ; implicit-def: $vgpr4_vgpr5
                                        ; implicit-def: $vgpr2_vgpr3
	s_wait_kmcnt 0x0
	global_store_b64 v6, v[0:1], s[0:1] scale_offset
                                        ; implicit-def: $vgpr6
                                        ; implicit-def: $vgpr0_vgpr1
.LBB3_22:
	s_wait_xcnt 0x0
	s_and_not1_saveexec_b32 s2, s2
	s_cbranch_execz .LBB3_24
; %bb.23:
	s_wait_kmcnt 0x0
	global_load_b64 v[8:9], v6, s[0:1] scale_offset
	s_wait_loadcnt 0x0
	v_mul_f64_e32 v[4:5], v[4:5], v[8:9]
	s_wait_dscnt 0x0
	s_delay_alu instid0(VALU_DEP_1)
	v_fmac_f64_e32 v[4:5], v[2:3], v[0:1]
	global_store_b64 v6, v[4:5], s[0:1] scale_offset
.LBB3_24:
	s_endpgm
	.section	.rodata,"a",@progbits
	.p2align	6, 0x0
	.amdhsa_kernel _ZN9rocsparseL12gemvi_kernelILj1024ELj64EidEEvT1_S1_NS_24const_host_device_scalarIT2_EEPKS3_lS1_S6_PKS1_S4_PS3_21rocsparse_index_base_b
		.amdhsa_group_segment_fixed_size 8192
		.amdhsa_private_segment_fixed_size 0
		.amdhsa_kernarg_size 80
		.amdhsa_user_sgpr_count 2
		.amdhsa_user_sgpr_dispatch_ptr 0
		.amdhsa_user_sgpr_queue_ptr 0
		.amdhsa_user_sgpr_kernarg_segment_ptr 1
		.amdhsa_user_sgpr_dispatch_id 0
		.amdhsa_user_sgpr_kernarg_preload_length 0
		.amdhsa_user_sgpr_kernarg_preload_offset 0
		.amdhsa_user_sgpr_private_segment_size 0
		.amdhsa_wavefront_size32 1
		.amdhsa_uses_dynamic_stack 0
		.amdhsa_enable_private_segment 0
		.amdhsa_system_sgpr_workgroup_id_x 1
		.amdhsa_system_sgpr_workgroup_id_y 0
		.amdhsa_system_sgpr_workgroup_id_z 0
		.amdhsa_system_sgpr_workgroup_info 0
		.amdhsa_system_vgpr_workitem_id 0
		.amdhsa_next_free_vgpr 24
		.amdhsa_next_free_sgpr 16
		.amdhsa_named_barrier_count 0
		.amdhsa_reserve_vcc 1
		.amdhsa_float_round_mode_32 0
		.amdhsa_float_round_mode_16_64 0
		.amdhsa_float_denorm_mode_32 3
		.amdhsa_float_denorm_mode_16_64 3
		.amdhsa_fp16_overflow 0
		.amdhsa_memory_ordered 1
		.amdhsa_forward_progress 1
		.amdhsa_inst_pref_size 7
		.amdhsa_round_robin_scheduling 0
		.amdhsa_exception_fp_ieee_invalid_op 0
		.amdhsa_exception_fp_denorm_src 0
		.amdhsa_exception_fp_ieee_div_zero 0
		.amdhsa_exception_fp_ieee_overflow 0
		.amdhsa_exception_fp_ieee_underflow 0
		.amdhsa_exception_fp_ieee_inexact 0
		.amdhsa_exception_int_div_zero 0
	.end_amdhsa_kernel
	.section	.text._ZN9rocsparseL12gemvi_kernelILj1024ELj64EidEEvT1_S1_NS_24const_host_device_scalarIT2_EEPKS3_lS1_S6_PKS1_S4_PS3_21rocsparse_index_base_b,"axG",@progbits,_ZN9rocsparseL12gemvi_kernelILj1024ELj64EidEEvT1_S1_NS_24const_host_device_scalarIT2_EEPKS3_lS1_S6_PKS1_S4_PS3_21rocsparse_index_base_b,comdat
.Lfunc_end3:
	.size	_ZN9rocsparseL12gemvi_kernelILj1024ELj64EidEEvT1_S1_NS_24const_host_device_scalarIT2_EEPKS3_lS1_S6_PKS1_S4_PS3_21rocsparse_index_base_b, .Lfunc_end3-_ZN9rocsparseL12gemvi_kernelILj1024ELj64EidEEvT1_S1_NS_24const_host_device_scalarIT2_EEPKS3_lS1_S6_PKS1_S4_PS3_21rocsparse_index_base_b
                                        ; -- End function
	.set _ZN9rocsparseL12gemvi_kernelILj1024ELj64EidEEvT1_S1_NS_24const_host_device_scalarIT2_EEPKS3_lS1_S6_PKS1_S4_PS3_21rocsparse_index_base_b.num_vgpr, 24
	.set _ZN9rocsparseL12gemvi_kernelILj1024ELj64EidEEvT1_S1_NS_24const_host_device_scalarIT2_EEPKS3_lS1_S6_PKS1_S4_PS3_21rocsparse_index_base_b.num_agpr, 0
	.set _ZN9rocsparseL12gemvi_kernelILj1024ELj64EidEEvT1_S1_NS_24const_host_device_scalarIT2_EEPKS3_lS1_S6_PKS1_S4_PS3_21rocsparse_index_base_b.numbered_sgpr, 16
	.set _ZN9rocsparseL12gemvi_kernelILj1024ELj64EidEEvT1_S1_NS_24const_host_device_scalarIT2_EEPKS3_lS1_S6_PKS1_S4_PS3_21rocsparse_index_base_b.num_named_barrier, 0
	.set _ZN9rocsparseL12gemvi_kernelILj1024ELj64EidEEvT1_S1_NS_24const_host_device_scalarIT2_EEPKS3_lS1_S6_PKS1_S4_PS3_21rocsparse_index_base_b.private_seg_size, 0
	.set _ZN9rocsparseL12gemvi_kernelILj1024ELj64EidEEvT1_S1_NS_24const_host_device_scalarIT2_EEPKS3_lS1_S6_PKS1_S4_PS3_21rocsparse_index_base_b.uses_vcc, 1
	.set _ZN9rocsparseL12gemvi_kernelILj1024ELj64EidEEvT1_S1_NS_24const_host_device_scalarIT2_EEPKS3_lS1_S6_PKS1_S4_PS3_21rocsparse_index_base_b.uses_flat_scratch, 0
	.set _ZN9rocsparseL12gemvi_kernelILj1024ELj64EidEEvT1_S1_NS_24const_host_device_scalarIT2_EEPKS3_lS1_S6_PKS1_S4_PS3_21rocsparse_index_base_b.has_dyn_sized_stack, 0
	.set _ZN9rocsparseL12gemvi_kernelILj1024ELj64EidEEvT1_S1_NS_24const_host_device_scalarIT2_EEPKS3_lS1_S6_PKS1_S4_PS3_21rocsparse_index_base_b.has_recursion, 0
	.set _ZN9rocsparseL12gemvi_kernelILj1024ELj64EidEEvT1_S1_NS_24const_host_device_scalarIT2_EEPKS3_lS1_S6_PKS1_S4_PS3_21rocsparse_index_base_b.has_indirect_call, 0
	.section	.AMDGPU.csdata,"",@progbits
; Kernel info:
; codeLenInByte = 892
; TotalNumSgprs: 18
; NumVgprs: 24
; ScratchSize: 0
; MemoryBound: 0
; FloatMode: 240
; IeeeMode: 1
; LDSByteSize: 8192 bytes/workgroup (compile time only)
; SGPRBlocks: 0
; VGPRBlocks: 1
; NumSGPRsForWavesPerEU: 18
; NumVGPRsForWavesPerEU: 24
; NamedBarCnt: 0
; Occupancy: 16
; WaveLimiterHint : 1
; COMPUTE_PGM_RSRC2:SCRATCH_EN: 0
; COMPUTE_PGM_RSRC2:USER_SGPR: 2
; COMPUTE_PGM_RSRC2:TRAP_HANDLER: 0
; COMPUTE_PGM_RSRC2:TGID_X_EN: 1
; COMPUTE_PGM_RSRC2:TGID_Y_EN: 0
; COMPUTE_PGM_RSRC2:TGID_Z_EN: 0
; COMPUTE_PGM_RSRC2:TIDIG_COMP_CNT: 0
	.section	.text._ZN9rocsparseL12gemvi_kernelILj1024ELj32Ei21rocsparse_complex_numIfEEEvT1_S3_NS_24const_host_device_scalarIT2_EEPKS5_lS3_S8_PKS3_S6_PS5_21rocsparse_index_base_b,"axG",@progbits,_ZN9rocsparseL12gemvi_kernelILj1024ELj32Ei21rocsparse_complex_numIfEEEvT1_S3_NS_24const_host_device_scalarIT2_EEPKS5_lS3_S8_PKS3_S6_PS5_21rocsparse_index_base_b,comdat
	.globl	_ZN9rocsparseL12gemvi_kernelILj1024ELj32Ei21rocsparse_complex_numIfEEEvT1_S3_NS_24const_host_device_scalarIT2_EEPKS5_lS3_S8_PKS3_S6_PS5_21rocsparse_index_base_b ; -- Begin function _ZN9rocsparseL12gemvi_kernelILj1024ELj32Ei21rocsparse_complex_numIfEEEvT1_S3_NS_24const_host_device_scalarIT2_EEPKS5_lS3_S8_PKS3_S6_PS5_21rocsparse_index_base_b
	.p2align	8
	.type	_ZN9rocsparseL12gemvi_kernelILj1024ELj32Ei21rocsparse_complex_numIfEEEvT1_S3_NS_24const_host_device_scalarIT2_EEPKS5_lS3_S8_PKS3_S6_PS5_21rocsparse_index_base_b,@function
_ZN9rocsparseL12gemvi_kernelILj1024ELj32Ei21rocsparse_complex_numIfEEEvT1_S3_NS_24const_host_device_scalarIT2_EEPKS5_lS3_S8_PKS3_S6_PS5_21rocsparse_index_base_b: ; @_ZN9rocsparseL12gemvi_kernelILj1024ELj32Ei21rocsparse_complex_numIfEEEvT1_S3_NS_24const_host_device_scalarIT2_EEPKS5_lS3_S8_PKS3_S6_PS5_21rocsparse_index_base_b
; %bb.0:
	s_clause 0x2
	s_load_b64 s[8:9], s[0:1], 0x48
	s_load_b64 s[2:3], s[0:1], 0x8
	;; [unrolled: 1-line block ×3, first 2 shown]
	v_mov_b32_e32 v8, 0
	s_add_nc_u64 s[6:7], s[0:1], 8
	s_add_nc_u64 s[10:11], s[0:1], 56
	s_wait_kmcnt 0x0
	s_bitcmp1_b32 s9, 0
	s_cselect_b32 s3, s7, s3
	s_cselect_b32 s2, s6, s2
	;; [unrolled: 1-line block ×4, first 2 shown]
	s_clause 0x1
	flat_load_b64 v[2:3], v8, s[2:3]
	flat_load_b64 v[4:5], v8, s[4:5]
	s_wait_loadcnt_dscnt 0x101
	v_cmp_neq_f32_e32 vcc_lo, 0, v2
	v_cmp_neq_f32_e64 s2, 0, v3
	s_wait_loadcnt_dscnt 0x0
	v_cmp_neq_f32_e64 s3, 1.0, v4
	v_cmp_neq_f32_e64 s4, 0, v5
	s_or_b32 s2, vcc_lo, s2
	s_or_b32 s3, s3, s4
	s_delay_alu instid0(SALU_CYCLE_1) | instskip(NEXT) | instid1(SALU_CYCLE_1)
	s_or_b32 s2, s2, s3
	s_and_saveexec_b32 s3, s2
	s_cbranch_execz .LBB4_22
; %bb.1:
	s_load_b32 s2, s[0:1], 0x0
	s_bfe_u32 s3, ttmp6, 0x4000c
	s_and_b32 s4, ttmp6, 15
	s_add_co_i32 s3, s3, 1
	s_getreg_b32 s5, hwreg(HW_REG_IB_STS2, 6, 4)
	s_mul_i32 s3, ttmp9, s3
	v_dual_mov_b32 v9, 0 :: v_dual_bitop2_b32 v1, 31, v0 bitop3:0x40
	s_add_co_i32 s4, s4, s3
	s_cmp_eq_u32 s5, 0
	s_cselect_b32 s3, ttmp9, s4
	s_delay_alu instid0(VALU_DEP_1) | instid1(SALU_CYCLE_1)
	v_lshl_or_b32 v6, s3, 5, v1
	s_mov_b32 s3, exec_lo
	s_wait_kmcnt 0x0
	s_delay_alu instid0(VALU_DEP_1)
	v_cmp_le_i32_e32 vcc_lo, s2, v6
	v_cmpx_gt_i32_e64 s2, v6
	s_cbranch_execz .LBB4_7
; %bb.2:
	s_load_b32 s9, s[0:1], 0x20
	v_dual_mov_b32 v9, 0 :: v_dual_lshrrev_b32 v16, 5, v0
	s_mov_b32 s10, exec_lo
	s_delay_alu instid0(VALU_DEP_1) | instskip(SKIP_1) | instid1(VALU_DEP_2)
	v_mov_b32_e32 v8, v9
	s_wait_kmcnt 0x0
	v_cmpx_gt_i32_e64 s9, v16
	s_cbranch_execz .LBB4_6
; %bb.3:
	s_clause 0x1
	s_load_b128 s[12:15], s[0:1], 0x28
	s_load_b128 s[4:7], s[0:1], 0x10
	v_dual_lshrrev_b32 v7, 5, v0 :: v_dual_mov_b32 v9, 0
	s_delay_alu instid0(VALU_DEP_1) | instskip(SKIP_1) | instid1(VALU_DEP_1)
	v_lshlrev_b32_e32 v8, 3, v7
	s_wait_kmcnt 0x0
	v_add_nc_u64_e32 v[10:11], s[12:13], v[8:9]
	v_dual_lshlrev_b32 v8, 2, v7 :: v_dual_ashrrev_i32 v7, 31, v6
	s_delay_alu instid0(VALU_DEP_1) | instskip(NEXT) | instid1(VALU_DEP_2)
	v_add_nc_u64_e32 v[12:13], s[14:15], v[8:9]
	v_lshl_add_u64 v[14:15], v[6:7], 3, s[4:5]
	v_mov_b32_e32 v8, v9
	s_mov_b32 s4, 0
.LBB4_4:                                ; =>This Inner Loop Header: Depth=1
	global_load_b32 v7, v[12:13], off
	s_wait_xcnt 0x0
	v_add_nc_u64_e32 v[12:13], 0x80, v[12:13]
	v_add_nc_u32_e32 v16, 32, v16
	s_delay_alu instid0(VALU_DEP_1) | instskip(SKIP_3) | instid1(VALU_DEP_1)
	v_cmp_le_i32_e64 s2, s9, v16
	s_or_b32 s4, s2, s4
	s_wait_loadcnt 0x0
	v_subrev_nc_u32_e32 v18, s8, v7
	v_ashrrev_i32_e32 v19, 31, v18
	s_delay_alu instid0(VALU_DEP_1) | instskip(NEXT) | instid1(VALU_DEP_1)
	v_mul_u64_e32 v[18:19], s[6:7], v[18:19]
	v_lshl_add_u64 v[18:19], v[18:19], 3, v[14:15]
	global_load_b64 v[20:21], v[10:11], off
	global_load_b64 v[22:23], v[18:19], off
	s_wait_xcnt 0x1
	v_add_nc_u64_e32 v[10:11], 0x100, v[10:11]
	s_wait_loadcnt 0x0
	v_pk_fma_f32 v[8:9], v[20:21], v[22:23], v[8:9] op_sel_hi:[1,0,1]
	s_delay_alu instid0(VALU_DEP_1)
	v_pk_fma_f32 v[8:9], v[20:21], v[22:23], v[8:9] op_sel:[1,1,0] op_sel_hi:[0,1,1] neg_lo:[1,0,0]
	s_and_not1_b32 exec_lo, exec_lo, s4
	s_cbranch_execnz .LBB4_4
; %bb.5:
	s_or_b32 exec_lo, exec_lo, s4
.LBB4_6:
	s_delay_alu instid0(SALU_CYCLE_1)
	s_or_b32 exec_lo, exec_lo, s10
.LBB4_7:
	s_delay_alu instid0(SALU_CYCLE_1)
	s_or_b32 exec_lo, exec_lo, s3
	v_lshlrev_b32_e32 v7, 3, v0
	s_mov_b32 s3, exec_lo
	ds_store_b64 v7, v[8:9]
	s_wait_dscnt 0x0
	s_barrier_signal -1
	s_barrier_wait -1
	v_cmpx_gt_u32_e32 0x200, v0
	s_cbranch_execz .LBB4_9
; %bb.8:
	ds_load_2addr_stride64_b64 v[8:11], v7 offset1:8
	s_wait_dscnt 0x0
	v_pk_add_f32 v[8:9], v[10:11], v[8:9]
	ds_store_b64 v7, v[8:9]
.LBB4_9:
	s_or_b32 exec_lo, exec_lo, s3
	s_delay_alu instid0(SALU_CYCLE_1)
	s_mov_b32 s3, exec_lo
	s_wait_dscnt 0x0
	s_barrier_signal -1
	s_barrier_wait -1
	v_cmpx_gt_u32_e32 0x100, v0
	s_cbranch_execz .LBB4_11
; %bb.10:
	ds_load_2addr_stride64_b64 v[8:11], v7 offset1:4
	s_wait_dscnt 0x0
	v_pk_add_f32 v[8:9], v[10:11], v[8:9]
	ds_store_b64 v7, v[8:9]
.LBB4_11:
	s_or_b32 exec_lo, exec_lo, s3
	s_delay_alu instid0(SALU_CYCLE_1)
	s_mov_b32 s3, exec_lo
	;; [unrolled: 14-line block ×3, first 2 shown]
	s_wait_dscnt 0x0
	s_barrier_signal -1
	s_barrier_wait -1
	v_cmpx_gt_u32_e32 64, v0
	s_cbranch_execz .LBB4_15
; %bb.14:
	ds_load_2addr_stride64_b64 v[8:11], v7 offset1:1
	s_wait_dscnt 0x0
	v_pk_add_f32 v[8:9], v[10:11], v[8:9]
	ds_store_b64 v7, v[8:9]
.LBB4_15:
	s_or_b32 exec_lo, exec_lo, s3
	v_cmp_lt_u32_e64 s2, 31, v0
	v_cmp_gt_u32_e64 s3, 32, v0
	v_lshlrev_b32_e32 v0, 3, v1
	s_wait_dscnt 0x0
	s_barrier_signal -1
	s_barrier_wait -1
	s_and_saveexec_b32 s4, s3
	s_cbranch_execz .LBB4_17
; %bb.16:
	ds_load_b64 v[8:9], v0 offset:256
	ds_load_b64 v[10:11], v7
	s_wait_dscnt 0x0
	v_pk_add_f32 v[8:9], v[8:9], v[10:11]
	ds_store_b64 v7, v[8:9]
.LBB4_17:
	s_or_b32 exec_lo, exec_lo, s4
	s_nor_b32 s2, s2, vcc_lo
	s_delay_alu instid0(SALU_CYCLE_1)
	s_and_b32 exec_lo, exec_lo, s2
	s_cbranch_execz .LBB4_22
; %bb.18:
	s_load_b64 s[0:1], s[0:1], 0x40
	ds_load_b64 v[0:1], v0
	v_bitop3_b32 v7, v4, 0x7fffffff, v5 bitop3:0xc8
	v_xor_b32_e32 v8, 0x80000000, v3
	s_mov_b32 s2, exec_lo
	s_delay_alu instid0(VALU_DEP_2)
	v_cmpx_eq_u32_e32 0, v7
	s_xor_b32 s2, exec_lo, s2
	s_cbranch_execz .LBB4_20
; %bb.19:
	s_wait_dscnt 0x0
	v_dual_mov_b32 v4, v1 :: v_dual_mov_b32 v9, v2
	s_delay_alu instid0(VALU_DEP_1) | instskip(NEXT) | instid1(VALU_DEP_1)
	v_pk_mul_f32 v[4:5], v[4:5], v[8:9] op_sel_hi:[0,1]
                                        ; implicit-def: $vgpr8
	v_pk_fma_f32 v[0:1], v[2:3], v[0:1], v[4:5] op_sel_hi:[1,0,1]
                                        ; implicit-def: $vgpr4_vgpr5
                                        ; implicit-def: $vgpr2_vgpr3
	s_wait_kmcnt 0x0
	global_store_b64 v6, v[0:1], s[0:1] scale_offset
                                        ; implicit-def: $vgpr6
                                        ; implicit-def: $vgpr0_vgpr1
.LBB4_20:
	s_wait_xcnt 0x0
	s_and_not1_saveexec_b32 s2, s2
	s_cbranch_execz .LBB4_22
; %bb.21:
	s_wait_kmcnt 0x0
	global_load_b64 v[10:11], v6, s[0:1] scale_offset
	v_xor_b32_e32 v12, 0x80000000, v5
	v_dual_mov_b32 v13, v4 :: v_dual_mov_b32 v9, v2
	s_wait_loadcnt 0x0
	s_delay_alu instid0(VALU_DEP_1) | instskip(NEXT) | instid1(VALU_DEP_1)
	v_pk_mul_f32 v[12:13], v[10:11], v[12:13] op_sel:[1,0]
	v_pk_fma_f32 v[4:5], v[4:5], v[10:11], v[12:13] op_sel_hi:[1,0,1]
	s_wait_dscnt 0x0
	s_delay_alu instid0(VALU_DEP_1) | instskip(SKIP_1) | instid1(VALU_DEP_1)
	v_pk_fma_f32 v[2:3], v[2:3], v[0:1], v[4:5] op_sel_hi:[1,0,1]
	v_mov_b32_e32 v0, v1
	v_pk_fma_f32 v[0:1], v[8:9], v[0:1], v[2:3] op_sel_hi:[1,0,1]
	global_store_b64 v6, v[0:1], s[0:1] scale_offset
.LBB4_22:
	s_endpgm
	.section	.rodata,"a",@progbits
	.p2align	6, 0x0
	.amdhsa_kernel _ZN9rocsparseL12gemvi_kernelILj1024ELj32Ei21rocsparse_complex_numIfEEEvT1_S3_NS_24const_host_device_scalarIT2_EEPKS5_lS3_S8_PKS3_S6_PS5_21rocsparse_index_base_b
		.amdhsa_group_segment_fixed_size 8192
		.amdhsa_private_segment_fixed_size 0
		.amdhsa_kernarg_size 80
		.amdhsa_user_sgpr_count 2
		.amdhsa_user_sgpr_dispatch_ptr 0
		.amdhsa_user_sgpr_queue_ptr 0
		.amdhsa_user_sgpr_kernarg_segment_ptr 1
		.amdhsa_user_sgpr_dispatch_id 0
		.amdhsa_user_sgpr_kernarg_preload_length 0
		.amdhsa_user_sgpr_kernarg_preload_offset 0
		.amdhsa_user_sgpr_private_segment_size 0
		.amdhsa_wavefront_size32 1
		.amdhsa_uses_dynamic_stack 0
		.amdhsa_enable_private_segment 0
		.amdhsa_system_sgpr_workgroup_id_x 1
		.amdhsa_system_sgpr_workgroup_id_y 0
		.amdhsa_system_sgpr_workgroup_id_z 0
		.amdhsa_system_sgpr_workgroup_info 0
		.amdhsa_system_vgpr_workitem_id 0
		.amdhsa_next_free_vgpr 24
		.amdhsa_next_free_sgpr 16
		.amdhsa_named_barrier_count 0
		.amdhsa_reserve_vcc 1
		.amdhsa_float_round_mode_32 0
		.amdhsa_float_round_mode_16_64 0
		.amdhsa_float_denorm_mode_32 3
		.amdhsa_float_denorm_mode_16_64 3
		.amdhsa_fp16_overflow 0
		.amdhsa_memory_ordered 1
		.amdhsa_forward_progress 1
		.amdhsa_inst_pref_size 9
		.amdhsa_round_robin_scheduling 0
		.amdhsa_exception_fp_ieee_invalid_op 0
		.amdhsa_exception_fp_denorm_src 0
		.amdhsa_exception_fp_ieee_div_zero 0
		.amdhsa_exception_fp_ieee_overflow 0
		.amdhsa_exception_fp_ieee_underflow 0
		.amdhsa_exception_fp_ieee_inexact 0
		.amdhsa_exception_int_div_zero 0
	.end_amdhsa_kernel
	.section	.text._ZN9rocsparseL12gemvi_kernelILj1024ELj32Ei21rocsparse_complex_numIfEEEvT1_S3_NS_24const_host_device_scalarIT2_EEPKS5_lS3_S8_PKS3_S6_PS5_21rocsparse_index_base_b,"axG",@progbits,_ZN9rocsparseL12gemvi_kernelILj1024ELj32Ei21rocsparse_complex_numIfEEEvT1_S3_NS_24const_host_device_scalarIT2_EEPKS5_lS3_S8_PKS3_S6_PS5_21rocsparse_index_base_b,comdat
.Lfunc_end4:
	.size	_ZN9rocsparseL12gemvi_kernelILj1024ELj32Ei21rocsparse_complex_numIfEEEvT1_S3_NS_24const_host_device_scalarIT2_EEPKS5_lS3_S8_PKS3_S6_PS5_21rocsparse_index_base_b, .Lfunc_end4-_ZN9rocsparseL12gemvi_kernelILj1024ELj32Ei21rocsparse_complex_numIfEEEvT1_S3_NS_24const_host_device_scalarIT2_EEPKS5_lS3_S8_PKS3_S6_PS5_21rocsparse_index_base_b
                                        ; -- End function
	.set _ZN9rocsparseL12gemvi_kernelILj1024ELj32Ei21rocsparse_complex_numIfEEEvT1_S3_NS_24const_host_device_scalarIT2_EEPKS5_lS3_S8_PKS3_S6_PS5_21rocsparse_index_base_b.num_vgpr, 24
	.set _ZN9rocsparseL12gemvi_kernelILj1024ELj32Ei21rocsparse_complex_numIfEEEvT1_S3_NS_24const_host_device_scalarIT2_EEPKS5_lS3_S8_PKS3_S6_PS5_21rocsparse_index_base_b.num_agpr, 0
	.set _ZN9rocsparseL12gemvi_kernelILj1024ELj32Ei21rocsparse_complex_numIfEEEvT1_S3_NS_24const_host_device_scalarIT2_EEPKS5_lS3_S8_PKS3_S6_PS5_21rocsparse_index_base_b.numbered_sgpr, 16
	.set _ZN9rocsparseL12gemvi_kernelILj1024ELj32Ei21rocsparse_complex_numIfEEEvT1_S3_NS_24const_host_device_scalarIT2_EEPKS5_lS3_S8_PKS3_S6_PS5_21rocsparse_index_base_b.num_named_barrier, 0
	.set _ZN9rocsparseL12gemvi_kernelILj1024ELj32Ei21rocsparse_complex_numIfEEEvT1_S3_NS_24const_host_device_scalarIT2_EEPKS5_lS3_S8_PKS3_S6_PS5_21rocsparse_index_base_b.private_seg_size, 0
	.set _ZN9rocsparseL12gemvi_kernelILj1024ELj32Ei21rocsparse_complex_numIfEEEvT1_S3_NS_24const_host_device_scalarIT2_EEPKS5_lS3_S8_PKS3_S6_PS5_21rocsparse_index_base_b.uses_vcc, 1
	.set _ZN9rocsparseL12gemvi_kernelILj1024ELj32Ei21rocsparse_complex_numIfEEEvT1_S3_NS_24const_host_device_scalarIT2_EEPKS5_lS3_S8_PKS3_S6_PS5_21rocsparse_index_base_b.uses_flat_scratch, 1
	.set _ZN9rocsparseL12gemvi_kernelILj1024ELj32Ei21rocsparse_complex_numIfEEEvT1_S3_NS_24const_host_device_scalarIT2_EEPKS5_lS3_S8_PKS3_S6_PS5_21rocsparse_index_base_b.has_dyn_sized_stack, 0
	.set _ZN9rocsparseL12gemvi_kernelILj1024ELj32Ei21rocsparse_complex_numIfEEEvT1_S3_NS_24const_host_device_scalarIT2_EEPKS5_lS3_S8_PKS3_S6_PS5_21rocsparse_index_base_b.has_recursion, 0
	.set _ZN9rocsparseL12gemvi_kernelILj1024ELj32Ei21rocsparse_complex_numIfEEEvT1_S3_NS_24const_host_device_scalarIT2_EEPKS5_lS3_S8_PKS3_S6_PS5_21rocsparse_index_base_b.has_indirect_call, 0
	.section	.AMDGPU.csdata,"",@progbits
; Kernel info:
; codeLenInByte = 1112
; TotalNumSgprs: 18
; NumVgprs: 24
; ScratchSize: 0
; MemoryBound: 0
; FloatMode: 240
; IeeeMode: 1
; LDSByteSize: 8192 bytes/workgroup (compile time only)
; SGPRBlocks: 0
; VGPRBlocks: 1
; NumSGPRsForWavesPerEU: 18
; NumVGPRsForWavesPerEU: 24
; NamedBarCnt: 0
; Occupancy: 16
; WaveLimiterHint : 1
; COMPUTE_PGM_RSRC2:SCRATCH_EN: 0
; COMPUTE_PGM_RSRC2:USER_SGPR: 2
; COMPUTE_PGM_RSRC2:TRAP_HANDLER: 0
; COMPUTE_PGM_RSRC2:TGID_X_EN: 1
; COMPUTE_PGM_RSRC2:TGID_Y_EN: 0
; COMPUTE_PGM_RSRC2:TGID_Z_EN: 0
; COMPUTE_PGM_RSRC2:TIDIG_COMP_CNT: 0
	.section	.text._ZN9rocsparseL12gemvi_kernelILj1024ELj64Ei21rocsparse_complex_numIfEEEvT1_S3_NS_24const_host_device_scalarIT2_EEPKS5_lS3_S8_PKS3_S6_PS5_21rocsparse_index_base_b,"axG",@progbits,_ZN9rocsparseL12gemvi_kernelILj1024ELj64Ei21rocsparse_complex_numIfEEEvT1_S3_NS_24const_host_device_scalarIT2_EEPKS5_lS3_S8_PKS3_S6_PS5_21rocsparse_index_base_b,comdat
	.globl	_ZN9rocsparseL12gemvi_kernelILj1024ELj64Ei21rocsparse_complex_numIfEEEvT1_S3_NS_24const_host_device_scalarIT2_EEPKS5_lS3_S8_PKS3_S6_PS5_21rocsparse_index_base_b ; -- Begin function _ZN9rocsparseL12gemvi_kernelILj1024ELj64Ei21rocsparse_complex_numIfEEEvT1_S3_NS_24const_host_device_scalarIT2_EEPKS5_lS3_S8_PKS3_S6_PS5_21rocsparse_index_base_b
	.p2align	8
	.type	_ZN9rocsparseL12gemvi_kernelILj1024ELj64Ei21rocsparse_complex_numIfEEEvT1_S3_NS_24const_host_device_scalarIT2_EEPKS5_lS3_S8_PKS3_S6_PS5_21rocsparse_index_base_b,@function
_ZN9rocsparseL12gemvi_kernelILj1024ELj64Ei21rocsparse_complex_numIfEEEvT1_S3_NS_24const_host_device_scalarIT2_EEPKS5_lS3_S8_PKS3_S6_PS5_21rocsparse_index_base_b: ; @_ZN9rocsparseL12gemvi_kernelILj1024ELj64Ei21rocsparse_complex_numIfEEEvT1_S3_NS_24const_host_device_scalarIT2_EEPKS5_lS3_S8_PKS3_S6_PS5_21rocsparse_index_base_b
; %bb.0:
	s_clause 0x2
	s_load_b64 s[8:9], s[0:1], 0x48
	s_load_b64 s[2:3], s[0:1], 0x8
	;; [unrolled: 1-line block ×3, first 2 shown]
	v_mov_b32_e32 v8, 0
	s_add_nc_u64 s[6:7], s[0:1], 8
	s_add_nc_u64 s[10:11], s[0:1], 56
	s_wait_kmcnt 0x0
	s_bitcmp1_b32 s9, 0
	s_cselect_b32 s3, s7, s3
	s_cselect_b32 s2, s6, s2
	;; [unrolled: 1-line block ×4, first 2 shown]
	s_clause 0x1
	flat_load_b64 v[2:3], v8, s[2:3]
	flat_load_b64 v[4:5], v8, s[4:5]
	s_wait_loadcnt_dscnt 0x101
	v_cmp_neq_f32_e32 vcc_lo, 0, v2
	v_cmp_neq_f32_e64 s2, 0, v3
	s_wait_loadcnt_dscnt 0x0
	v_cmp_neq_f32_e64 s3, 1.0, v4
	v_cmp_neq_f32_e64 s4, 0, v5
	s_or_b32 s2, vcc_lo, s2
	s_or_b32 s3, s3, s4
	s_delay_alu instid0(SALU_CYCLE_1) | instskip(NEXT) | instid1(SALU_CYCLE_1)
	s_or_b32 s2, s2, s3
	s_and_saveexec_b32 s3, s2
	s_cbranch_execz .LBB5_20
; %bb.1:
	s_load_b32 s2, s[0:1], 0x0
	s_bfe_u32 s3, ttmp6, 0x4000c
	s_and_b32 s4, ttmp6, 15
	s_add_co_i32 s3, s3, 1
	s_getreg_b32 s5, hwreg(HW_REG_IB_STS2, 6, 4)
	s_mul_i32 s3, ttmp9, s3
	v_dual_mov_b32 v9, 0 :: v_dual_bitop2_b32 v1, 63, v0 bitop3:0x40
	s_add_co_i32 s4, s4, s3
	s_cmp_eq_u32 s5, 0
	s_cselect_b32 s3, ttmp9, s4
	s_delay_alu instid0(VALU_DEP_1) | instid1(SALU_CYCLE_1)
	v_lshl_or_b32 v6, s3, 6, v1
	s_mov_b32 s3, exec_lo
	s_wait_kmcnt 0x0
	s_delay_alu instid0(VALU_DEP_1)
	v_cmp_le_i32_e32 vcc_lo, s2, v6
	v_cmpx_gt_i32_e64 s2, v6
	s_cbranch_execz .LBB5_7
; %bb.2:
	s_load_b32 s9, s[0:1], 0x20
	v_dual_mov_b32 v9, 0 :: v_dual_lshrrev_b32 v16, 6, v0
	s_mov_b32 s10, exec_lo
	s_delay_alu instid0(VALU_DEP_1) | instskip(SKIP_1) | instid1(VALU_DEP_2)
	v_mov_b32_e32 v8, v9
	s_wait_kmcnt 0x0
	v_cmpx_gt_i32_e64 s9, v16
	s_cbranch_execz .LBB5_6
; %bb.3:
	s_clause 0x1
	s_load_b128 s[12:15], s[0:1], 0x28
	s_load_b128 s[4:7], s[0:1], 0x10
	v_dual_lshrrev_b32 v7, 6, v0 :: v_dual_mov_b32 v9, 0
	s_delay_alu instid0(VALU_DEP_1) | instskip(SKIP_1) | instid1(VALU_DEP_1)
	v_lshlrev_b32_e32 v8, 3, v7
	s_wait_kmcnt 0x0
	v_add_nc_u64_e32 v[10:11], s[12:13], v[8:9]
	v_dual_lshlrev_b32 v8, 2, v7 :: v_dual_ashrrev_i32 v7, 31, v6
	s_delay_alu instid0(VALU_DEP_1) | instskip(NEXT) | instid1(VALU_DEP_2)
	v_add_nc_u64_e32 v[12:13], s[14:15], v[8:9]
	v_lshl_add_u64 v[14:15], v[6:7], 3, s[4:5]
	v_mov_b32_e32 v8, v9
	s_mov_b32 s4, 0
.LBB5_4:                                ; =>This Inner Loop Header: Depth=1
	global_load_b32 v7, v[12:13], off
	s_wait_xcnt 0x0
	v_add_nc_u64_e32 v[12:13], 64, v[12:13]
	v_add_nc_u32_e32 v16, 16, v16
	s_delay_alu instid0(VALU_DEP_1) | instskip(SKIP_3) | instid1(VALU_DEP_1)
	v_cmp_le_i32_e64 s2, s9, v16
	s_or_b32 s4, s2, s4
	s_wait_loadcnt 0x0
	v_subrev_nc_u32_e32 v18, s8, v7
	v_ashrrev_i32_e32 v19, 31, v18
	s_delay_alu instid0(VALU_DEP_1) | instskip(NEXT) | instid1(VALU_DEP_1)
	v_mul_u64_e32 v[18:19], s[6:7], v[18:19]
	v_lshl_add_u64 v[18:19], v[18:19], 3, v[14:15]
	global_load_b64 v[20:21], v[10:11], off
	global_load_b64 v[22:23], v[18:19], off
	s_wait_xcnt 0x1
	v_add_nc_u64_e32 v[10:11], 0x80, v[10:11]
	s_wait_loadcnt 0x0
	v_pk_fma_f32 v[8:9], v[20:21], v[22:23], v[8:9] op_sel_hi:[1,0,1]
	s_delay_alu instid0(VALU_DEP_1)
	v_pk_fma_f32 v[8:9], v[20:21], v[22:23], v[8:9] op_sel:[1,1,0] op_sel_hi:[0,1,1] neg_lo:[1,0,0]
	s_and_not1_b32 exec_lo, exec_lo, s4
	s_cbranch_execnz .LBB5_4
; %bb.5:
	s_or_b32 exec_lo, exec_lo, s4
.LBB5_6:
	s_delay_alu instid0(SALU_CYCLE_1)
	s_or_b32 exec_lo, exec_lo, s10
.LBB5_7:
	s_delay_alu instid0(SALU_CYCLE_1)
	s_or_b32 exec_lo, exec_lo, s3
	v_lshlrev_b32_e32 v7, 3, v0
	s_mov_b32 s3, exec_lo
	ds_store_b64 v7, v[8:9]
	s_wait_dscnt 0x0
	s_barrier_signal -1
	s_barrier_wait -1
	v_cmpx_gt_u32_e32 0x200, v0
	s_cbranch_execz .LBB5_9
; %bb.8:
	ds_load_2addr_stride64_b64 v[8:11], v7 offset1:8
	s_wait_dscnt 0x0
	v_pk_add_f32 v[8:9], v[10:11], v[8:9]
	ds_store_b64 v7, v[8:9]
.LBB5_9:
	s_or_b32 exec_lo, exec_lo, s3
	s_delay_alu instid0(SALU_CYCLE_1)
	s_mov_b32 s3, exec_lo
	s_wait_dscnt 0x0
	s_barrier_signal -1
	s_barrier_wait -1
	v_cmpx_gt_u32_e32 0x100, v0
	s_cbranch_execz .LBB5_11
; %bb.10:
	ds_load_2addr_stride64_b64 v[8:11], v7 offset1:4
	s_wait_dscnt 0x0
	v_pk_add_f32 v[8:9], v[10:11], v[8:9]
	ds_store_b64 v7, v[8:9]
.LBB5_11:
	s_or_b32 exec_lo, exec_lo, s3
	s_delay_alu instid0(SALU_CYCLE_1)
	s_mov_b32 s3, exec_lo
	s_wait_dscnt 0x0
	s_barrier_signal -1
	s_barrier_wait -1
	v_cmpx_gt_u32_e32 0x80, v0
	s_cbranch_execz .LBB5_13
; %bb.12:
	ds_load_2addr_stride64_b64 v[8:11], v7 offset1:2
	s_wait_dscnt 0x0
	v_pk_add_f32 v[8:9], v[10:11], v[8:9]
	ds_store_b64 v7, v[8:9]
.LBB5_13:
	s_or_b32 exec_lo, exec_lo, s3
	v_cmp_lt_u32_e64 s2, 63, v0
	v_cmp_gt_u32_e64 s3, 64, v0
	v_lshlrev_b32_e32 v0, 3, v1
	s_wait_dscnt 0x0
	s_barrier_signal -1
	s_barrier_wait -1
	s_and_saveexec_b32 s4, s3
	s_cbranch_execz .LBB5_15
; %bb.14:
	ds_load_b64 v[8:9], v0 offset:512
	ds_load_b64 v[10:11], v7
	s_wait_dscnt 0x0
	v_pk_add_f32 v[8:9], v[8:9], v[10:11]
	ds_store_b64 v7, v[8:9]
.LBB5_15:
	s_or_b32 exec_lo, exec_lo, s4
	s_nor_b32 s2, s2, vcc_lo
	s_delay_alu instid0(SALU_CYCLE_1)
	s_and_b32 exec_lo, exec_lo, s2
	s_cbranch_execz .LBB5_20
; %bb.16:
	s_load_b64 s[0:1], s[0:1], 0x40
	ds_load_b64 v[0:1], v0
	v_bitop3_b32 v7, v4, 0x7fffffff, v5 bitop3:0xc8
	v_xor_b32_e32 v8, 0x80000000, v3
	s_mov_b32 s2, exec_lo
	s_delay_alu instid0(VALU_DEP_2)
	v_cmpx_eq_u32_e32 0, v7
	s_xor_b32 s2, exec_lo, s2
	s_cbranch_execz .LBB5_18
; %bb.17:
	s_wait_dscnt 0x0
	v_dual_mov_b32 v4, v1 :: v_dual_mov_b32 v9, v2
	s_delay_alu instid0(VALU_DEP_1) | instskip(NEXT) | instid1(VALU_DEP_1)
	v_pk_mul_f32 v[4:5], v[4:5], v[8:9] op_sel_hi:[0,1]
                                        ; implicit-def: $vgpr8
	v_pk_fma_f32 v[0:1], v[2:3], v[0:1], v[4:5] op_sel_hi:[1,0,1]
                                        ; implicit-def: $vgpr4_vgpr5
                                        ; implicit-def: $vgpr2_vgpr3
	s_wait_kmcnt 0x0
	global_store_b64 v6, v[0:1], s[0:1] scale_offset
                                        ; implicit-def: $vgpr6
                                        ; implicit-def: $vgpr0_vgpr1
.LBB5_18:
	s_wait_xcnt 0x0
	s_and_not1_saveexec_b32 s2, s2
	s_cbranch_execz .LBB5_20
; %bb.19:
	s_wait_kmcnt 0x0
	global_load_b64 v[10:11], v6, s[0:1] scale_offset
	v_xor_b32_e32 v12, 0x80000000, v5
	v_dual_mov_b32 v13, v4 :: v_dual_mov_b32 v9, v2
	s_wait_loadcnt 0x0
	s_delay_alu instid0(VALU_DEP_1) | instskip(NEXT) | instid1(VALU_DEP_1)
	v_pk_mul_f32 v[12:13], v[10:11], v[12:13] op_sel:[1,0]
	v_pk_fma_f32 v[4:5], v[4:5], v[10:11], v[12:13] op_sel_hi:[1,0,1]
	s_wait_dscnt 0x0
	s_delay_alu instid0(VALU_DEP_1) | instskip(SKIP_1) | instid1(VALU_DEP_1)
	v_pk_fma_f32 v[2:3], v[2:3], v[0:1], v[4:5] op_sel_hi:[1,0,1]
	v_mov_b32_e32 v0, v1
	v_pk_fma_f32 v[0:1], v[8:9], v[0:1], v[2:3] op_sel_hi:[1,0,1]
	global_store_b64 v6, v[0:1], s[0:1] scale_offset
.LBB5_20:
	s_endpgm
	.section	.rodata,"a",@progbits
	.p2align	6, 0x0
	.amdhsa_kernel _ZN9rocsparseL12gemvi_kernelILj1024ELj64Ei21rocsparse_complex_numIfEEEvT1_S3_NS_24const_host_device_scalarIT2_EEPKS5_lS3_S8_PKS3_S6_PS5_21rocsparse_index_base_b
		.amdhsa_group_segment_fixed_size 8192
		.amdhsa_private_segment_fixed_size 0
		.amdhsa_kernarg_size 80
		.amdhsa_user_sgpr_count 2
		.amdhsa_user_sgpr_dispatch_ptr 0
		.amdhsa_user_sgpr_queue_ptr 0
		.amdhsa_user_sgpr_kernarg_segment_ptr 1
		.amdhsa_user_sgpr_dispatch_id 0
		.amdhsa_user_sgpr_kernarg_preload_length 0
		.amdhsa_user_sgpr_kernarg_preload_offset 0
		.amdhsa_user_sgpr_private_segment_size 0
		.amdhsa_wavefront_size32 1
		.amdhsa_uses_dynamic_stack 0
		.amdhsa_enable_private_segment 0
		.amdhsa_system_sgpr_workgroup_id_x 1
		.amdhsa_system_sgpr_workgroup_id_y 0
		.amdhsa_system_sgpr_workgroup_id_z 0
		.amdhsa_system_sgpr_workgroup_info 0
		.amdhsa_system_vgpr_workitem_id 0
		.amdhsa_next_free_vgpr 24
		.amdhsa_next_free_sgpr 16
		.amdhsa_named_barrier_count 0
		.amdhsa_reserve_vcc 1
		.amdhsa_float_round_mode_32 0
		.amdhsa_float_round_mode_16_64 0
		.amdhsa_float_denorm_mode_32 3
		.amdhsa_float_denorm_mode_16_64 3
		.amdhsa_fp16_overflow 0
		.amdhsa_memory_ordered 1
		.amdhsa_forward_progress 1
		.amdhsa_inst_pref_size 9
		.amdhsa_round_robin_scheduling 0
		.amdhsa_exception_fp_ieee_invalid_op 0
		.amdhsa_exception_fp_denorm_src 0
		.amdhsa_exception_fp_ieee_div_zero 0
		.amdhsa_exception_fp_ieee_overflow 0
		.amdhsa_exception_fp_ieee_underflow 0
		.amdhsa_exception_fp_ieee_inexact 0
		.amdhsa_exception_int_div_zero 0
	.end_amdhsa_kernel
	.section	.text._ZN9rocsparseL12gemvi_kernelILj1024ELj64Ei21rocsparse_complex_numIfEEEvT1_S3_NS_24const_host_device_scalarIT2_EEPKS5_lS3_S8_PKS3_S6_PS5_21rocsparse_index_base_b,"axG",@progbits,_ZN9rocsparseL12gemvi_kernelILj1024ELj64Ei21rocsparse_complex_numIfEEEvT1_S3_NS_24const_host_device_scalarIT2_EEPKS5_lS3_S8_PKS3_S6_PS5_21rocsparse_index_base_b,comdat
.Lfunc_end5:
	.size	_ZN9rocsparseL12gemvi_kernelILj1024ELj64Ei21rocsparse_complex_numIfEEEvT1_S3_NS_24const_host_device_scalarIT2_EEPKS5_lS3_S8_PKS3_S6_PS5_21rocsparse_index_base_b, .Lfunc_end5-_ZN9rocsparseL12gemvi_kernelILj1024ELj64Ei21rocsparse_complex_numIfEEEvT1_S3_NS_24const_host_device_scalarIT2_EEPKS5_lS3_S8_PKS3_S6_PS5_21rocsparse_index_base_b
                                        ; -- End function
	.set _ZN9rocsparseL12gemvi_kernelILj1024ELj64Ei21rocsparse_complex_numIfEEEvT1_S3_NS_24const_host_device_scalarIT2_EEPKS5_lS3_S8_PKS3_S6_PS5_21rocsparse_index_base_b.num_vgpr, 24
	.set _ZN9rocsparseL12gemvi_kernelILj1024ELj64Ei21rocsparse_complex_numIfEEEvT1_S3_NS_24const_host_device_scalarIT2_EEPKS5_lS3_S8_PKS3_S6_PS5_21rocsparse_index_base_b.num_agpr, 0
	.set _ZN9rocsparseL12gemvi_kernelILj1024ELj64Ei21rocsparse_complex_numIfEEEvT1_S3_NS_24const_host_device_scalarIT2_EEPKS5_lS3_S8_PKS3_S6_PS5_21rocsparse_index_base_b.numbered_sgpr, 16
	.set _ZN9rocsparseL12gemvi_kernelILj1024ELj64Ei21rocsparse_complex_numIfEEEvT1_S3_NS_24const_host_device_scalarIT2_EEPKS5_lS3_S8_PKS3_S6_PS5_21rocsparse_index_base_b.num_named_barrier, 0
	.set _ZN9rocsparseL12gemvi_kernelILj1024ELj64Ei21rocsparse_complex_numIfEEEvT1_S3_NS_24const_host_device_scalarIT2_EEPKS5_lS3_S8_PKS3_S6_PS5_21rocsparse_index_base_b.private_seg_size, 0
	.set _ZN9rocsparseL12gemvi_kernelILj1024ELj64Ei21rocsparse_complex_numIfEEEvT1_S3_NS_24const_host_device_scalarIT2_EEPKS5_lS3_S8_PKS3_S6_PS5_21rocsparse_index_base_b.uses_vcc, 1
	.set _ZN9rocsparseL12gemvi_kernelILj1024ELj64Ei21rocsparse_complex_numIfEEEvT1_S3_NS_24const_host_device_scalarIT2_EEPKS5_lS3_S8_PKS3_S6_PS5_21rocsparse_index_base_b.uses_flat_scratch, 1
	.set _ZN9rocsparseL12gemvi_kernelILj1024ELj64Ei21rocsparse_complex_numIfEEEvT1_S3_NS_24const_host_device_scalarIT2_EEPKS5_lS3_S8_PKS3_S6_PS5_21rocsparse_index_base_b.has_dyn_sized_stack, 0
	.set _ZN9rocsparseL12gemvi_kernelILj1024ELj64Ei21rocsparse_complex_numIfEEEvT1_S3_NS_24const_host_device_scalarIT2_EEPKS5_lS3_S8_PKS3_S6_PS5_21rocsparse_index_base_b.has_recursion, 0
	.set _ZN9rocsparseL12gemvi_kernelILj1024ELj64Ei21rocsparse_complex_numIfEEEvT1_S3_NS_24const_host_device_scalarIT2_EEPKS5_lS3_S8_PKS3_S6_PS5_21rocsparse_index_base_b.has_indirect_call, 0
	.section	.AMDGPU.csdata,"",@progbits
; Kernel info:
; codeLenInByte = 1048
; TotalNumSgprs: 18
; NumVgprs: 24
; ScratchSize: 0
; MemoryBound: 0
; FloatMode: 240
; IeeeMode: 1
; LDSByteSize: 8192 bytes/workgroup (compile time only)
; SGPRBlocks: 0
; VGPRBlocks: 1
; NumSGPRsForWavesPerEU: 18
; NumVGPRsForWavesPerEU: 24
; NamedBarCnt: 0
; Occupancy: 16
; WaveLimiterHint : 1
; COMPUTE_PGM_RSRC2:SCRATCH_EN: 0
; COMPUTE_PGM_RSRC2:USER_SGPR: 2
; COMPUTE_PGM_RSRC2:TRAP_HANDLER: 0
; COMPUTE_PGM_RSRC2:TGID_X_EN: 1
; COMPUTE_PGM_RSRC2:TGID_Y_EN: 0
; COMPUTE_PGM_RSRC2:TGID_Z_EN: 0
; COMPUTE_PGM_RSRC2:TIDIG_COMP_CNT: 0
	.section	.text._ZN9rocsparseL12gemvi_kernelILj1024ELj32Ei21rocsparse_complex_numIdEEEvT1_S3_NS_24const_host_device_scalarIT2_EEPKS5_lS3_S8_PKS3_S6_PS5_21rocsparse_index_base_b,"axG",@progbits,_ZN9rocsparseL12gemvi_kernelILj1024ELj32Ei21rocsparse_complex_numIdEEEvT1_S3_NS_24const_host_device_scalarIT2_EEPKS5_lS3_S8_PKS3_S6_PS5_21rocsparse_index_base_b,comdat
	.globl	_ZN9rocsparseL12gemvi_kernelILj1024ELj32Ei21rocsparse_complex_numIdEEEvT1_S3_NS_24const_host_device_scalarIT2_EEPKS5_lS3_S8_PKS3_S6_PS5_21rocsparse_index_base_b ; -- Begin function _ZN9rocsparseL12gemvi_kernelILj1024ELj32Ei21rocsparse_complex_numIdEEEvT1_S3_NS_24const_host_device_scalarIT2_EEPKS5_lS3_S8_PKS3_S6_PS5_21rocsparse_index_base_b
	.p2align	8
	.type	_ZN9rocsparseL12gemvi_kernelILj1024ELj32Ei21rocsparse_complex_numIdEEEvT1_S3_NS_24const_host_device_scalarIT2_EEPKS5_lS3_S8_PKS3_S6_PS5_21rocsparse_index_base_b,@function
_ZN9rocsparseL12gemvi_kernelILj1024ELj32Ei21rocsparse_complex_numIdEEEvT1_S3_NS_24const_host_device_scalarIT2_EEPKS5_lS3_S8_PKS3_S6_PS5_21rocsparse_index_base_b: ; @_ZN9rocsparseL12gemvi_kernelILj1024ELj32Ei21rocsparse_complex_numIdEEEvT1_S3_NS_24const_host_device_scalarIT2_EEPKS5_lS3_S8_PKS3_S6_PS5_21rocsparse_index_base_b
; %bb.0:
	s_clause 0x1
	s_load_b64 s[8:9], s[0:1], 0x58
	s_load_b64 s[2:3], s[0:1], 0x8
	v_mov_b32_e32 v1, 0
	s_add_nc_u64 s[4:5], s[0:1], 8
	s_load_b64 s[6:7], s[0:1], 0x40
	s_wait_kmcnt 0x0
	s_bitcmp1_b32 s9, 0
	s_cselect_b32 s3, s5, s3
	s_cselect_b32 s2, s4, s2
	flat_load_b128 v[2:5], v1, s[2:3]
	s_wait_xcnt 0x0
	s_add_nc_u64 s[2:3], s[0:1], 64
	s_delay_alu instid0(SALU_CYCLE_1)
	s_cselect_b32 s3, s3, s7
	s_cselect_b32 s2, s2, s6
	flat_load_b128 v[6:9], v1, s[2:3]
	s_wait_loadcnt_dscnt 0x101
	v_cmp_eq_f64_e32 vcc_lo, 0, v[2:3]
	s_wait_xcnt 0x0
	v_cmp_eq_f64_e64 s2, 0, v[4:5]
	s_and_b32 s4, vcc_lo, s2
	s_mov_b32 s2, -1
	s_and_saveexec_b32 s3, s4
	s_cbranch_execz .LBB6_2
; %bb.1:
	s_wait_loadcnt_dscnt 0x0
	v_cmp_neq_f64_e32 vcc_lo, 1.0, v[6:7]
	v_cmp_neq_f64_e64 s2, 0, v[8:9]
	s_or_b32 s2, vcc_lo, s2
	s_delay_alu instid0(SALU_CYCLE_1)
	s_or_not1_b32 s2, s2, exec_lo
.LBB6_2:
	s_or_b32 exec_lo, exec_lo, s3
	s_and_saveexec_b32 s3, s2
	s_cbranch_execz .LBB6_24
; %bb.3:
	s_load_b32 s2, s[0:1], 0x0
	s_bfe_u32 s3, ttmp6, 0x4000c
	v_mov_b64_e32 v[10:11], 0
	s_add_co_i32 s3, s3, 1
	s_and_b32 s4, ttmp6, 15
	s_mul_i32 s3, ttmp9, s3
	s_getreg_b32 s5, hwreg(HW_REG_IB_STS2, 6, 4)
	v_and_b32_e32 v1, 31, v0
	s_add_co_i32 s4, s4, s3
	s_cmp_eq_u32 s5, 0
	v_mov_b64_e32 v[12:13], v[10:11]
	s_cselect_b32 s3, ttmp9, s4
	s_delay_alu instid0(SALU_CYCLE_1) | instskip(SKIP_2) | instid1(VALU_DEP_1)
	v_lshl_or_b32 v14, s3, 5, v1
	s_mov_b32 s3, exec_lo
	s_wait_kmcnt 0x0
	v_cmp_le_i32_e32 vcc_lo, s2, v14
	v_cmpx_gt_i32_e64 s2, v14
	s_cbranch_execz .LBB6_9
; %bb.4:
	s_load_b32 s9, s[0:1], 0x28
	v_mov_b64_e32 v[12:13], 0
	v_mov_b64_e32 v[10:11], 0
	v_lshrrev_b32_e32 v22, 5, v0
	s_mov_b32 s10, exec_lo
	s_wait_kmcnt 0x0
	s_delay_alu instid0(VALU_DEP_1)
	v_cmpx_gt_i32_e64 s9, v22
	s_cbranch_execz .LBB6_8
; %bb.5:
	s_clause 0x1
	s_load_b128 s[12:15], s[0:1], 0x30
	s_load_b128 s[4:7], s[0:1], 0x18
	v_dual_lshrrev_b32 v15, 5, v0 :: v_dual_mov_b32 v11, 0
	v_mov_b64_e32 v[12:13], 0
	s_delay_alu instid0(VALU_DEP_2) | instskip(SKIP_1) | instid1(VALU_DEP_1)
	v_lshlrev_b32_e32 v10, 4, v15
	s_wait_kmcnt 0x0
	v_add_nc_u64_e32 v[16:17], s[12:13], v[10:11]
	v_dual_lshlrev_b32 v10, 2, v15 :: v_dual_ashrrev_i32 v15, 31, v14
	s_delay_alu instid0(VALU_DEP_1) | instskip(NEXT) | instid1(VALU_DEP_3)
	v_add_nc_u64_e32 v[18:19], s[14:15], v[10:11]
	v_add_nc_u64_e32 v[16:17], 8, v[16:17]
	v_mov_b64_e32 v[10:11], v[12:13]
	s_delay_alu instid0(VALU_DEP_4)
	v_lshl_add_u64 v[20:21], v[14:15], 4, s[4:5]
	s_mov_b32 s4, 0
.LBB6_6:                                ; =>This Inner Loop Header: Depth=1
	global_load_b32 v15, v[18:19], off
	v_add_nc_u32_e32 v22, 32, v22
	s_wait_xcnt 0x0
	v_add_nc_u64_e32 v[18:19], 0x80, v[18:19]
	s_delay_alu instid0(VALU_DEP_2) | instskip(SKIP_3) | instid1(VALU_DEP_1)
	v_cmp_le_i32_e64 s2, s9, v22
	s_or_b32 s4, s2, s4
	s_wait_loadcnt 0x0
	v_subrev_nc_u32_e32 v24, s8, v15
	v_ashrrev_i32_e32 v25, 31, v24
	s_delay_alu instid0(VALU_DEP_1) | instskip(NEXT) | instid1(VALU_DEP_1)
	v_mul_u64_e32 v[24:25], s[6:7], v[24:25]
	v_lshl_add_u64 v[32:33], v[24:25], 4, v[20:21]
	global_load_b128 v[24:27], v[16:17], off offset:-8
	global_load_b128 v[28:31], v[32:33], off
	s_wait_xcnt 0x1
	v_add_nc_u64_e32 v[16:17], 0x200, v[16:17]
	s_wait_loadcnt 0x0
	v_fmac_f64_e32 v[10:11], v[24:25], v[28:29]
	v_fmac_f64_e32 v[12:13], v[26:27], v[28:29]
	s_delay_alu instid0(VALU_DEP_2) | instskip(NEXT) | instid1(VALU_DEP_2)
	v_fma_f64 v[10:11], -v[26:27], v[30:31], v[10:11]
	v_fmac_f64_e32 v[12:13], v[24:25], v[30:31]
	s_and_not1_b32 exec_lo, exec_lo, s4
	s_cbranch_execnz .LBB6_6
; %bb.7:
	s_or_b32 exec_lo, exec_lo, s4
.LBB6_8:
	s_delay_alu instid0(SALU_CYCLE_1)
	s_or_b32 exec_lo, exec_lo, s10
.LBB6_9:
	s_delay_alu instid0(SALU_CYCLE_1)
	s_or_b32 exec_lo, exec_lo, s3
	v_lshlrev_b32_e32 v15, 4, v0
	s_mov_b32 s3, exec_lo
	ds_store_b128 v15, v[10:13]
	s_wait_loadcnt_dscnt 0x0
	s_barrier_signal -1
	s_barrier_wait -1
	v_cmpx_gt_u32_e32 0x200, v0
	s_cbranch_execz .LBB6_11
; %bb.10:
	ds_load_b128 v[10:13], v15 offset:8192
	ds_load_b128 v[16:19], v15
	s_wait_dscnt 0x0
	v_add_f64_e32 v[10:11], v[10:11], v[16:17]
	v_add_f64_e32 v[12:13], v[12:13], v[18:19]
	ds_store_b128 v15, v[10:13]
.LBB6_11:
	s_or_b32 exec_lo, exec_lo, s3
	s_delay_alu instid0(SALU_CYCLE_1)
	s_mov_b32 s3, exec_lo
	s_wait_dscnt 0x0
	s_barrier_signal -1
	s_barrier_wait -1
	v_cmpx_gt_u32_e32 0x100, v0
	s_cbranch_execz .LBB6_13
; %bb.12:
	ds_load_b128 v[10:13], v15 offset:4096
	ds_load_b128 v[16:19], v15
	s_wait_dscnt 0x0
	v_add_f64_e32 v[10:11], v[10:11], v[16:17]
	v_add_f64_e32 v[12:13], v[12:13], v[18:19]
	ds_store_b128 v15, v[10:13]
.LBB6_13:
	s_or_b32 exec_lo, exec_lo, s3
	s_delay_alu instid0(SALU_CYCLE_1)
	s_mov_b32 s3, exec_lo
	s_wait_dscnt 0x0
	;; [unrolled: 16-line block ×3, first 2 shown]
	s_barrier_signal -1
	s_barrier_wait -1
	v_cmpx_gt_u32_e32 64, v0
	s_cbranch_execz .LBB6_17
; %bb.16:
	ds_load_b128 v[10:13], v15 offset:1024
	ds_load_b128 v[16:19], v15
	s_wait_dscnt 0x0
	v_add_f64_e32 v[10:11], v[10:11], v[16:17]
	v_add_f64_e32 v[12:13], v[12:13], v[18:19]
	ds_store_b128 v15, v[10:13]
.LBB6_17:
	s_or_b32 exec_lo, exec_lo, s3
	v_cmp_lt_u32_e64 s2, 31, v0
	v_cmp_gt_u32_e64 s3, 32, v0
	v_lshlrev_b32_e32 v0, 4, v1
	s_wait_dscnt 0x0
	s_barrier_signal -1
	s_barrier_wait -1
	s_and_saveexec_b32 s4, s3
	s_cbranch_execz .LBB6_19
; %bb.18:
	ds_load_b128 v[10:13], v0 offset:512
	ds_load_b128 v[16:19], v15
	s_wait_dscnt 0x0
	v_add_f64_e32 v[10:11], v[10:11], v[16:17]
	v_add_f64_e32 v[12:13], v[12:13], v[18:19]
	ds_store_b128 v15, v[10:13]
.LBB6_19:
	s_or_b32 exec_lo, exec_lo, s4
	s_nor_b32 s2, s2, vcc_lo
	s_delay_alu instid0(SALU_CYCLE_1)
	s_and_b32 exec_lo, exec_lo, s2
	s_cbranch_execz .LBB6_24
; %bb.20:
	v_cmp_eq_f64_e32 vcc_lo, 0, v[6:7]
	v_cmp_eq_f64_e64 s2, 0, v[8:9]
	s_load_b64 s[0:1], s[0:1], 0x50
	ds_load_b128 v[10:13], v0
	s_and_b32 s2, vcc_lo, s2
	s_delay_alu instid0(SALU_CYCLE_1) | instskip(NEXT) | instid1(SALU_CYCLE_1)
	s_and_saveexec_b32 s3, s2
	s_xor_b32 s2, exec_lo, s3
	s_cbranch_execz .LBB6_22
; %bb.21:
	s_wait_dscnt 0x0
	v_mul_f64_e64 v[6:7], v[12:13], -v[4:5]
	v_mul_f64_e32 v[8:9], v[2:3], v[12:13]
	s_delay_alu instid0(VALU_DEP_2) | instskip(NEXT) | instid1(VALU_DEP_2)
	v_fmac_f64_e32 v[6:7], v[2:3], v[10:11]
	v_fmac_f64_e32 v[8:9], v[4:5], v[10:11]
                                        ; implicit-def: $vgpr2_vgpr3
                                        ; implicit-def: $vgpr10_vgpr11
	s_wait_kmcnt 0x0
	global_store_b128 v14, v[6:9], s[0:1] scale_offset
                                        ; implicit-def: $vgpr14
                                        ; implicit-def: $vgpr8_vgpr9
.LBB6_22:
	s_wait_xcnt 0x0
	s_and_not1_saveexec_b32 s2, s2
	s_cbranch_execz .LBB6_24
; %bb.23:
	s_wait_kmcnt 0x0
	global_load_b128 v[16:19], v14, s[0:1] scale_offset
	s_wait_loadcnt 0x0
	v_mul_f64_e64 v[0:1], v[18:19], -v[8:9]
	v_mul_f64_e32 v[18:19], v[6:7], v[18:19]
	s_delay_alu instid0(VALU_DEP_2) | instskip(NEXT) | instid1(VALU_DEP_2)
	v_fmac_f64_e32 v[0:1], v[6:7], v[16:17]
	v_fmac_f64_e32 v[18:19], v[8:9], v[16:17]
	s_wait_dscnt 0x0
	s_delay_alu instid0(VALU_DEP_2) | instskip(NEXT) | instid1(VALU_DEP_2)
	v_fmac_f64_e32 v[0:1], v[2:3], v[10:11]
	v_fmac_f64_e32 v[18:19], v[4:5], v[10:11]
	s_delay_alu instid0(VALU_DEP_2) | instskip(NEXT) | instid1(VALU_DEP_2)
	v_fma_f64 v[16:17], -v[4:5], v[12:13], v[0:1]
	v_fmac_f64_e32 v[18:19], v[2:3], v[12:13]
	global_store_b128 v14, v[16:19], s[0:1] scale_offset
.LBB6_24:
	s_endpgm
	.section	.rodata,"a",@progbits
	.p2align	6, 0x0
	.amdhsa_kernel _ZN9rocsparseL12gemvi_kernelILj1024ELj32Ei21rocsparse_complex_numIdEEEvT1_S3_NS_24const_host_device_scalarIT2_EEPKS5_lS3_S8_PKS3_S6_PS5_21rocsparse_index_base_b
		.amdhsa_group_segment_fixed_size 16384
		.amdhsa_private_segment_fixed_size 0
		.amdhsa_kernarg_size 96
		.amdhsa_user_sgpr_count 2
		.amdhsa_user_sgpr_dispatch_ptr 0
		.amdhsa_user_sgpr_queue_ptr 0
		.amdhsa_user_sgpr_kernarg_segment_ptr 1
		.amdhsa_user_sgpr_dispatch_id 0
		.amdhsa_user_sgpr_kernarg_preload_length 0
		.amdhsa_user_sgpr_kernarg_preload_offset 0
		.amdhsa_user_sgpr_private_segment_size 0
		.amdhsa_wavefront_size32 1
		.amdhsa_uses_dynamic_stack 0
		.amdhsa_enable_private_segment 0
		.amdhsa_system_sgpr_workgroup_id_x 1
		.amdhsa_system_sgpr_workgroup_id_y 0
		.amdhsa_system_sgpr_workgroup_id_z 0
		.amdhsa_system_sgpr_workgroup_info 0
		.amdhsa_system_vgpr_workitem_id 0
		.amdhsa_next_free_vgpr 34
		.amdhsa_next_free_sgpr 16
		.amdhsa_named_barrier_count 0
		.amdhsa_reserve_vcc 1
		.amdhsa_float_round_mode_32 0
		.amdhsa_float_round_mode_16_64 0
		.amdhsa_float_denorm_mode_32 3
		.amdhsa_float_denorm_mode_16_64 3
		.amdhsa_fp16_overflow 0
		.amdhsa_memory_ordered 1
		.amdhsa_forward_progress 1
		.amdhsa_inst_pref_size 9
		.amdhsa_round_robin_scheduling 0
		.amdhsa_exception_fp_ieee_invalid_op 0
		.amdhsa_exception_fp_denorm_src 0
		.amdhsa_exception_fp_ieee_div_zero 0
		.amdhsa_exception_fp_ieee_overflow 0
		.amdhsa_exception_fp_ieee_underflow 0
		.amdhsa_exception_fp_ieee_inexact 0
		.amdhsa_exception_int_div_zero 0
	.end_amdhsa_kernel
	.section	.text._ZN9rocsparseL12gemvi_kernelILj1024ELj32Ei21rocsparse_complex_numIdEEEvT1_S3_NS_24const_host_device_scalarIT2_EEPKS5_lS3_S8_PKS3_S6_PS5_21rocsparse_index_base_b,"axG",@progbits,_ZN9rocsparseL12gemvi_kernelILj1024ELj32Ei21rocsparse_complex_numIdEEEvT1_S3_NS_24const_host_device_scalarIT2_EEPKS5_lS3_S8_PKS3_S6_PS5_21rocsparse_index_base_b,comdat
.Lfunc_end6:
	.size	_ZN9rocsparseL12gemvi_kernelILj1024ELj32Ei21rocsparse_complex_numIdEEEvT1_S3_NS_24const_host_device_scalarIT2_EEPKS5_lS3_S8_PKS3_S6_PS5_21rocsparse_index_base_b, .Lfunc_end6-_ZN9rocsparseL12gemvi_kernelILj1024ELj32Ei21rocsparse_complex_numIdEEEvT1_S3_NS_24const_host_device_scalarIT2_EEPKS5_lS3_S8_PKS3_S6_PS5_21rocsparse_index_base_b
                                        ; -- End function
	.set _ZN9rocsparseL12gemvi_kernelILj1024ELj32Ei21rocsparse_complex_numIdEEEvT1_S3_NS_24const_host_device_scalarIT2_EEPKS5_lS3_S8_PKS3_S6_PS5_21rocsparse_index_base_b.num_vgpr, 34
	.set _ZN9rocsparseL12gemvi_kernelILj1024ELj32Ei21rocsparse_complex_numIdEEEvT1_S3_NS_24const_host_device_scalarIT2_EEPKS5_lS3_S8_PKS3_S6_PS5_21rocsparse_index_base_b.num_agpr, 0
	.set _ZN9rocsparseL12gemvi_kernelILj1024ELj32Ei21rocsparse_complex_numIdEEEvT1_S3_NS_24const_host_device_scalarIT2_EEPKS5_lS3_S8_PKS3_S6_PS5_21rocsparse_index_base_b.numbered_sgpr, 16
	.set _ZN9rocsparseL12gemvi_kernelILj1024ELj32Ei21rocsparse_complex_numIdEEEvT1_S3_NS_24const_host_device_scalarIT2_EEPKS5_lS3_S8_PKS3_S6_PS5_21rocsparse_index_base_b.num_named_barrier, 0
	.set _ZN9rocsparseL12gemvi_kernelILj1024ELj32Ei21rocsparse_complex_numIdEEEvT1_S3_NS_24const_host_device_scalarIT2_EEPKS5_lS3_S8_PKS3_S6_PS5_21rocsparse_index_base_b.private_seg_size, 0
	.set _ZN9rocsparseL12gemvi_kernelILj1024ELj32Ei21rocsparse_complex_numIdEEEvT1_S3_NS_24const_host_device_scalarIT2_EEPKS5_lS3_S8_PKS3_S6_PS5_21rocsparse_index_base_b.uses_vcc, 1
	.set _ZN9rocsparseL12gemvi_kernelILj1024ELj32Ei21rocsparse_complex_numIdEEEvT1_S3_NS_24const_host_device_scalarIT2_EEPKS5_lS3_S8_PKS3_S6_PS5_21rocsparse_index_base_b.uses_flat_scratch, 0
	.set _ZN9rocsparseL12gemvi_kernelILj1024ELj32Ei21rocsparse_complex_numIdEEEvT1_S3_NS_24const_host_device_scalarIT2_EEPKS5_lS3_S8_PKS3_S6_PS5_21rocsparse_index_base_b.has_dyn_sized_stack, 0
	.set _ZN9rocsparseL12gemvi_kernelILj1024ELj32Ei21rocsparse_complex_numIdEEEvT1_S3_NS_24const_host_device_scalarIT2_EEPKS5_lS3_S8_PKS3_S6_PS5_21rocsparse_index_base_b.has_recursion, 0
	.set _ZN9rocsparseL12gemvi_kernelILj1024ELj32Ei21rocsparse_complex_numIdEEEvT1_S3_NS_24const_host_device_scalarIT2_EEPKS5_lS3_S8_PKS3_S6_PS5_21rocsparse_index_base_b.has_indirect_call, 0
	.section	.AMDGPU.csdata,"",@progbits
; Kernel info:
; codeLenInByte = 1152
; TotalNumSgprs: 18
; NumVgprs: 34
; ScratchSize: 0
; MemoryBound: 0
; FloatMode: 240
; IeeeMode: 1
; LDSByteSize: 16384 bytes/workgroup (compile time only)
; SGPRBlocks: 0
; VGPRBlocks: 2
; NumSGPRsForWavesPerEU: 18
; NumVGPRsForWavesPerEU: 34
; NamedBarCnt: 0
; Occupancy: 16
; WaveLimiterHint : 1
; COMPUTE_PGM_RSRC2:SCRATCH_EN: 0
; COMPUTE_PGM_RSRC2:USER_SGPR: 2
; COMPUTE_PGM_RSRC2:TRAP_HANDLER: 0
; COMPUTE_PGM_RSRC2:TGID_X_EN: 1
; COMPUTE_PGM_RSRC2:TGID_Y_EN: 0
; COMPUTE_PGM_RSRC2:TGID_Z_EN: 0
; COMPUTE_PGM_RSRC2:TIDIG_COMP_CNT: 0
	.section	.text._ZN9rocsparseL12gemvi_kernelILj1024ELj64Ei21rocsparse_complex_numIdEEEvT1_S3_NS_24const_host_device_scalarIT2_EEPKS5_lS3_S8_PKS3_S6_PS5_21rocsparse_index_base_b,"axG",@progbits,_ZN9rocsparseL12gemvi_kernelILj1024ELj64Ei21rocsparse_complex_numIdEEEvT1_S3_NS_24const_host_device_scalarIT2_EEPKS5_lS3_S8_PKS3_S6_PS5_21rocsparse_index_base_b,comdat
	.globl	_ZN9rocsparseL12gemvi_kernelILj1024ELj64Ei21rocsparse_complex_numIdEEEvT1_S3_NS_24const_host_device_scalarIT2_EEPKS5_lS3_S8_PKS3_S6_PS5_21rocsparse_index_base_b ; -- Begin function _ZN9rocsparseL12gemvi_kernelILj1024ELj64Ei21rocsparse_complex_numIdEEEvT1_S3_NS_24const_host_device_scalarIT2_EEPKS5_lS3_S8_PKS3_S6_PS5_21rocsparse_index_base_b
	.p2align	8
	.type	_ZN9rocsparseL12gemvi_kernelILj1024ELj64Ei21rocsparse_complex_numIdEEEvT1_S3_NS_24const_host_device_scalarIT2_EEPKS5_lS3_S8_PKS3_S6_PS5_21rocsparse_index_base_b,@function
_ZN9rocsparseL12gemvi_kernelILj1024ELj64Ei21rocsparse_complex_numIdEEEvT1_S3_NS_24const_host_device_scalarIT2_EEPKS5_lS3_S8_PKS3_S6_PS5_21rocsparse_index_base_b: ; @_ZN9rocsparseL12gemvi_kernelILj1024ELj64Ei21rocsparse_complex_numIdEEEvT1_S3_NS_24const_host_device_scalarIT2_EEPKS5_lS3_S8_PKS3_S6_PS5_21rocsparse_index_base_b
; %bb.0:
	s_clause 0x1
	s_load_b64 s[8:9], s[0:1], 0x58
	s_load_b64 s[2:3], s[0:1], 0x8
	v_mov_b32_e32 v1, 0
	s_add_nc_u64 s[4:5], s[0:1], 8
	s_load_b64 s[6:7], s[0:1], 0x40
	s_wait_kmcnt 0x0
	s_bitcmp1_b32 s9, 0
	s_cselect_b32 s3, s5, s3
	s_cselect_b32 s2, s4, s2
	flat_load_b128 v[2:5], v1, s[2:3]
	s_wait_xcnt 0x0
	s_add_nc_u64 s[2:3], s[0:1], 64
	s_delay_alu instid0(SALU_CYCLE_1)
	s_cselect_b32 s3, s3, s7
	s_cselect_b32 s2, s2, s6
	flat_load_b128 v[6:9], v1, s[2:3]
	s_wait_loadcnt_dscnt 0x101
	v_cmp_eq_f64_e32 vcc_lo, 0, v[2:3]
	s_wait_xcnt 0x0
	v_cmp_eq_f64_e64 s2, 0, v[4:5]
	s_and_b32 s4, vcc_lo, s2
	s_mov_b32 s2, -1
	s_and_saveexec_b32 s3, s4
	s_cbranch_execz .LBB7_2
; %bb.1:
	s_wait_loadcnt_dscnt 0x0
	v_cmp_neq_f64_e32 vcc_lo, 1.0, v[6:7]
	v_cmp_neq_f64_e64 s2, 0, v[8:9]
	s_or_b32 s2, vcc_lo, s2
	s_delay_alu instid0(SALU_CYCLE_1)
	s_or_not1_b32 s2, s2, exec_lo
.LBB7_2:
	s_or_b32 exec_lo, exec_lo, s3
	s_and_saveexec_b32 s3, s2
	s_cbranch_execz .LBB7_22
; %bb.3:
	s_load_b32 s2, s[0:1], 0x0
	s_bfe_u32 s3, ttmp6, 0x4000c
	v_mov_b64_e32 v[10:11], 0
	s_add_co_i32 s3, s3, 1
	s_and_b32 s4, ttmp6, 15
	s_mul_i32 s3, ttmp9, s3
	s_getreg_b32 s5, hwreg(HW_REG_IB_STS2, 6, 4)
	v_and_b32_e32 v1, 63, v0
	s_add_co_i32 s4, s4, s3
	s_cmp_eq_u32 s5, 0
	v_mov_b64_e32 v[12:13], v[10:11]
	s_cselect_b32 s3, ttmp9, s4
	s_delay_alu instid0(SALU_CYCLE_1) | instskip(SKIP_2) | instid1(VALU_DEP_1)
	v_lshl_or_b32 v14, s3, 6, v1
	s_mov_b32 s3, exec_lo
	s_wait_kmcnt 0x0
	v_cmp_le_i32_e32 vcc_lo, s2, v14
	v_cmpx_gt_i32_e64 s2, v14
	s_cbranch_execz .LBB7_9
; %bb.4:
	s_load_b32 s9, s[0:1], 0x28
	v_mov_b64_e32 v[12:13], 0
	v_mov_b64_e32 v[10:11], 0
	v_lshrrev_b32_e32 v22, 6, v0
	s_mov_b32 s10, exec_lo
	s_wait_kmcnt 0x0
	s_delay_alu instid0(VALU_DEP_1)
	v_cmpx_gt_i32_e64 s9, v22
	s_cbranch_execz .LBB7_8
; %bb.5:
	s_clause 0x1
	s_load_b128 s[12:15], s[0:1], 0x30
	s_load_b128 s[4:7], s[0:1], 0x18
	v_dual_lshrrev_b32 v15, 6, v0 :: v_dual_mov_b32 v11, 0
	v_mov_b64_e32 v[12:13], 0
	s_delay_alu instid0(VALU_DEP_2) | instskip(SKIP_1) | instid1(VALU_DEP_1)
	v_lshlrev_b32_e32 v10, 4, v15
	s_wait_kmcnt 0x0
	v_add_nc_u64_e32 v[16:17], s[12:13], v[10:11]
	v_dual_lshlrev_b32 v10, 2, v15 :: v_dual_ashrrev_i32 v15, 31, v14
	s_delay_alu instid0(VALU_DEP_1) | instskip(NEXT) | instid1(VALU_DEP_3)
	v_add_nc_u64_e32 v[18:19], s[14:15], v[10:11]
	v_add_nc_u64_e32 v[16:17], 8, v[16:17]
	v_mov_b64_e32 v[10:11], v[12:13]
	s_delay_alu instid0(VALU_DEP_4)
	v_lshl_add_u64 v[20:21], v[14:15], 4, s[4:5]
	s_mov_b32 s4, 0
.LBB7_6:                                ; =>This Inner Loop Header: Depth=1
	global_load_b32 v15, v[18:19], off
	v_add_nc_u32_e32 v22, 16, v22
	s_wait_xcnt 0x0
	v_add_nc_u64_e32 v[18:19], 64, v[18:19]
	s_delay_alu instid0(VALU_DEP_2) | instskip(SKIP_3) | instid1(VALU_DEP_1)
	v_cmp_le_i32_e64 s2, s9, v22
	s_or_b32 s4, s2, s4
	s_wait_loadcnt 0x0
	v_subrev_nc_u32_e32 v24, s8, v15
	v_ashrrev_i32_e32 v25, 31, v24
	s_delay_alu instid0(VALU_DEP_1) | instskip(NEXT) | instid1(VALU_DEP_1)
	v_mul_u64_e32 v[24:25], s[6:7], v[24:25]
	v_lshl_add_u64 v[32:33], v[24:25], 4, v[20:21]
	global_load_b128 v[24:27], v[16:17], off offset:-8
	global_load_b128 v[28:31], v[32:33], off
	s_wait_xcnt 0x1
	v_add_nc_u64_e32 v[16:17], 0x100, v[16:17]
	s_wait_loadcnt 0x0
	v_fmac_f64_e32 v[10:11], v[24:25], v[28:29]
	v_fmac_f64_e32 v[12:13], v[26:27], v[28:29]
	s_delay_alu instid0(VALU_DEP_2) | instskip(NEXT) | instid1(VALU_DEP_2)
	v_fma_f64 v[10:11], -v[26:27], v[30:31], v[10:11]
	v_fmac_f64_e32 v[12:13], v[24:25], v[30:31]
	s_and_not1_b32 exec_lo, exec_lo, s4
	s_cbranch_execnz .LBB7_6
; %bb.7:
	s_or_b32 exec_lo, exec_lo, s4
.LBB7_8:
	s_delay_alu instid0(SALU_CYCLE_1)
	s_or_b32 exec_lo, exec_lo, s10
.LBB7_9:
	s_delay_alu instid0(SALU_CYCLE_1)
	s_or_b32 exec_lo, exec_lo, s3
	v_lshlrev_b32_e32 v15, 4, v0
	s_mov_b32 s3, exec_lo
	ds_store_b128 v15, v[10:13]
	s_wait_loadcnt_dscnt 0x0
	s_barrier_signal -1
	s_barrier_wait -1
	v_cmpx_gt_u32_e32 0x200, v0
	s_cbranch_execz .LBB7_11
; %bb.10:
	ds_load_b128 v[10:13], v15 offset:8192
	ds_load_b128 v[16:19], v15
	s_wait_dscnt 0x0
	v_add_f64_e32 v[10:11], v[10:11], v[16:17]
	v_add_f64_e32 v[12:13], v[12:13], v[18:19]
	ds_store_b128 v15, v[10:13]
.LBB7_11:
	s_or_b32 exec_lo, exec_lo, s3
	s_delay_alu instid0(SALU_CYCLE_1)
	s_mov_b32 s3, exec_lo
	s_wait_dscnt 0x0
	s_barrier_signal -1
	s_barrier_wait -1
	v_cmpx_gt_u32_e32 0x100, v0
	s_cbranch_execz .LBB7_13
; %bb.12:
	ds_load_b128 v[10:13], v15 offset:4096
	ds_load_b128 v[16:19], v15
	s_wait_dscnt 0x0
	v_add_f64_e32 v[10:11], v[10:11], v[16:17]
	v_add_f64_e32 v[12:13], v[12:13], v[18:19]
	ds_store_b128 v15, v[10:13]
.LBB7_13:
	s_or_b32 exec_lo, exec_lo, s3
	s_delay_alu instid0(SALU_CYCLE_1)
	s_mov_b32 s3, exec_lo
	s_wait_dscnt 0x0
	s_barrier_signal -1
	s_barrier_wait -1
	v_cmpx_gt_u32_e32 0x80, v0
	s_cbranch_execz .LBB7_15
; %bb.14:
	ds_load_b128 v[10:13], v15 offset:2048
	ds_load_b128 v[16:19], v15
	s_wait_dscnt 0x0
	v_add_f64_e32 v[10:11], v[10:11], v[16:17]
	v_add_f64_e32 v[12:13], v[12:13], v[18:19]
	ds_store_b128 v15, v[10:13]
.LBB7_15:
	s_or_b32 exec_lo, exec_lo, s3
	v_cmp_lt_u32_e64 s2, 63, v0
	v_cmp_gt_u32_e64 s3, 64, v0
	v_lshlrev_b32_e32 v0, 4, v1
	s_wait_dscnt 0x0
	s_barrier_signal -1
	s_barrier_wait -1
	s_and_saveexec_b32 s4, s3
	s_cbranch_execz .LBB7_17
; %bb.16:
	ds_load_b128 v[10:13], v0 offset:1024
	ds_load_b128 v[16:19], v15
	s_wait_dscnt 0x0
	v_add_f64_e32 v[10:11], v[10:11], v[16:17]
	v_add_f64_e32 v[12:13], v[12:13], v[18:19]
	ds_store_b128 v15, v[10:13]
.LBB7_17:
	s_or_b32 exec_lo, exec_lo, s4
	s_nor_b32 s2, s2, vcc_lo
	s_delay_alu instid0(SALU_CYCLE_1)
	s_and_b32 exec_lo, exec_lo, s2
	s_cbranch_execz .LBB7_22
; %bb.18:
	v_cmp_eq_f64_e32 vcc_lo, 0, v[6:7]
	v_cmp_eq_f64_e64 s2, 0, v[8:9]
	s_load_b64 s[0:1], s[0:1], 0x50
	ds_load_b128 v[10:13], v0
	s_and_b32 s2, vcc_lo, s2
	s_delay_alu instid0(SALU_CYCLE_1) | instskip(NEXT) | instid1(SALU_CYCLE_1)
	s_and_saveexec_b32 s3, s2
	s_xor_b32 s2, exec_lo, s3
	s_cbranch_execz .LBB7_20
; %bb.19:
	s_wait_dscnt 0x0
	v_mul_f64_e64 v[6:7], v[12:13], -v[4:5]
	v_mul_f64_e32 v[8:9], v[2:3], v[12:13]
	s_delay_alu instid0(VALU_DEP_2) | instskip(NEXT) | instid1(VALU_DEP_2)
	v_fmac_f64_e32 v[6:7], v[2:3], v[10:11]
	v_fmac_f64_e32 v[8:9], v[4:5], v[10:11]
                                        ; implicit-def: $vgpr2_vgpr3
                                        ; implicit-def: $vgpr10_vgpr11
	s_wait_kmcnt 0x0
	global_store_b128 v14, v[6:9], s[0:1] scale_offset
                                        ; implicit-def: $vgpr14
                                        ; implicit-def: $vgpr8_vgpr9
.LBB7_20:
	s_wait_xcnt 0x0
	s_and_not1_saveexec_b32 s2, s2
	s_cbranch_execz .LBB7_22
; %bb.21:
	s_wait_kmcnt 0x0
	global_load_b128 v[16:19], v14, s[0:1] scale_offset
	s_wait_loadcnt 0x0
	v_mul_f64_e64 v[0:1], v[18:19], -v[8:9]
	v_mul_f64_e32 v[18:19], v[6:7], v[18:19]
	s_delay_alu instid0(VALU_DEP_2) | instskip(NEXT) | instid1(VALU_DEP_2)
	v_fmac_f64_e32 v[0:1], v[6:7], v[16:17]
	v_fmac_f64_e32 v[18:19], v[8:9], v[16:17]
	s_wait_dscnt 0x0
	s_delay_alu instid0(VALU_DEP_2) | instskip(NEXT) | instid1(VALU_DEP_2)
	v_fmac_f64_e32 v[0:1], v[2:3], v[10:11]
	v_fmac_f64_e32 v[18:19], v[4:5], v[10:11]
	s_delay_alu instid0(VALU_DEP_2) | instskip(NEXT) | instid1(VALU_DEP_2)
	v_fma_f64 v[16:17], -v[4:5], v[12:13], v[0:1]
	v_fmac_f64_e32 v[18:19], v[2:3], v[12:13]
	global_store_b128 v14, v[16:19], s[0:1] scale_offset
.LBB7_22:
	s_endpgm
	.section	.rodata,"a",@progbits
	.p2align	6, 0x0
	.amdhsa_kernel _ZN9rocsparseL12gemvi_kernelILj1024ELj64Ei21rocsparse_complex_numIdEEEvT1_S3_NS_24const_host_device_scalarIT2_EEPKS5_lS3_S8_PKS3_S6_PS5_21rocsparse_index_base_b
		.amdhsa_group_segment_fixed_size 16384
		.amdhsa_private_segment_fixed_size 0
		.amdhsa_kernarg_size 96
		.amdhsa_user_sgpr_count 2
		.amdhsa_user_sgpr_dispatch_ptr 0
		.amdhsa_user_sgpr_queue_ptr 0
		.amdhsa_user_sgpr_kernarg_segment_ptr 1
		.amdhsa_user_sgpr_dispatch_id 0
		.amdhsa_user_sgpr_kernarg_preload_length 0
		.amdhsa_user_sgpr_kernarg_preload_offset 0
		.amdhsa_user_sgpr_private_segment_size 0
		.amdhsa_wavefront_size32 1
		.amdhsa_uses_dynamic_stack 0
		.amdhsa_enable_private_segment 0
		.amdhsa_system_sgpr_workgroup_id_x 1
		.amdhsa_system_sgpr_workgroup_id_y 0
		.amdhsa_system_sgpr_workgroup_id_z 0
		.amdhsa_system_sgpr_workgroup_info 0
		.amdhsa_system_vgpr_workitem_id 0
		.amdhsa_next_free_vgpr 34
		.amdhsa_next_free_sgpr 16
		.amdhsa_named_barrier_count 0
		.amdhsa_reserve_vcc 1
		.amdhsa_float_round_mode_32 0
		.amdhsa_float_round_mode_16_64 0
		.amdhsa_float_denorm_mode_32 3
		.amdhsa_float_denorm_mode_16_64 3
		.amdhsa_fp16_overflow 0
		.amdhsa_memory_ordered 1
		.amdhsa_forward_progress 1
		.amdhsa_inst_pref_size 9
		.amdhsa_round_robin_scheduling 0
		.amdhsa_exception_fp_ieee_invalid_op 0
		.amdhsa_exception_fp_denorm_src 0
		.amdhsa_exception_fp_ieee_div_zero 0
		.amdhsa_exception_fp_ieee_overflow 0
		.amdhsa_exception_fp_ieee_underflow 0
		.amdhsa_exception_fp_ieee_inexact 0
		.amdhsa_exception_int_div_zero 0
	.end_amdhsa_kernel
	.section	.text._ZN9rocsparseL12gemvi_kernelILj1024ELj64Ei21rocsparse_complex_numIdEEEvT1_S3_NS_24const_host_device_scalarIT2_EEPKS5_lS3_S8_PKS3_S6_PS5_21rocsparse_index_base_b,"axG",@progbits,_ZN9rocsparseL12gemvi_kernelILj1024ELj64Ei21rocsparse_complex_numIdEEEvT1_S3_NS_24const_host_device_scalarIT2_EEPKS5_lS3_S8_PKS3_S6_PS5_21rocsparse_index_base_b,comdat
.Lfunc_end7:
	.size	_ZN9rocsparseL12gemvi_kernelILj1024ELj64Ei21rocsparse_complex_numIdEEEvT1_S3_NS_24const_host_device_scalarIT2_EEPKS5_lS3_S8_PKS3_S6_PS5_21rocsparse_index_base_b, .Lfunc_end7-_ZN9rocsparseL12gemvi_kernelILj1024ELj64Ei21rocsparse_complex_numIdEEEvT1_S3_NS_24const_host_device_scalarIT2_EEPKS5_lS3_S8_PKS3_S6_PS5_21rocsparse_index_base_b
                                        ; -- End function
	.set _ZN9rocsparseL12gemvi_kernelILj1024ELj64Ei21rocsparse_complex_numIdEEEvT1_S3_NS_24const_host_device_scalarIT2_EEPKS5_lS3_S8_PKS3_S6_PS5_21rocsparse_index_base_b.num_vgpr, 34
	.set _ZN9rocsparseL12gemvi_kernelILj1024ELj64Ei21rocsparse_complex_numIdEEEvT1_S3_NS_24const_host_device_scalarIT2_EEPKS5_lS3_S8_PKS3_S6_PS5_21rocsparse_index_base_b.num_agpr, 0
	.set _ZN9rocsparseL12gemvi_kernelILj1024ELj64Ei21rocsparse_complex_numIdEEEvT1_S3_NS_24const_host_device_scalarIT2_EEPKS5_lS3_S8_PKS3_S6_PS5_21rocsparse_index_base_b.numbered_sgpr, 16
	.set _ZN9rocsparseL12gemvi_kernelILj1024ELj64Ei21rocsparse_complex_numIdEEEvT1_S3_NS_24const_host_device_scalarIT2_EEPKS5_lS3_S8_PKS3_S6_PS5_21rocsparse_index_base_b.num_named_barrier, 0
	.set _ZN9rocsparseL12gemvi_kernelILj1024ELj64Ei21rocsparse_complex_numIdEEEvT1_S3_NS_24const_host_device_scalarIT2_EEPKS5_lS3_S8_PKS3_S6_PS5_21rocsparse_index_base_b.private_seg_size, 0
	.set _ZN9rocsparseL12gemvi_kernelILj1024ELj64Ei21rocsparse_complex_numIdEEEvT1_S3_NS_24const_host_device_scalarIT2_EEPKS5_lS3_S8_PKS3_S6_PS5_21rocsparse_index_base_b.uses_vcc, 1
	.set _ZN9rocsparseL12gemvi_kernelILj1024ELj64Ei21rocsparse_complex_numIdEEEvT1_S3_NS_24const_host_device_scalarIT2_EEPKS5_lS3_S8_PKS3_S6_PS5_21rocsparse_index_base_b.uses_flat_scratch, 0
	.set _ZN9rocsparseL12gemvi_kernelILj1024ELj64Ei21rocsparse_complex_numIdEEEvT1_S3_NS_24const_host_device_scalarIT2_EEPKS5_lS3_S8_PKS3_S6_PS5_21rocsparse_index_base_b.has_dyn_sized_stack, 0
	.set _ZN9rocsparseL12gemvi_kernelILj1024ELj64Ei21rocsparse_complex_numIdEEEvT1_S3_NS_24const_host_device_scalarIT2_EEPKS5_lS3_S8_PKS3_S6_PS5_21rocsparse_index_base_b.has_recursion, 0
	.set _ZN9rocsparseL12gemvi_kernelILj1024ELj64Ei21rocsparse_complex_numIdEEEvT1_S3_NS_24const_host_device_scalarIT2_EEPKS5_lS3_S8_PKS3_S6_PS5_21rocsparse_index_base_b.has_indirect_call, 0
	.section	.AMDGPU.csdata,"",@progbits
; Kernel info:
; codeLenInByte = 1080
; TotalNumSgprs: 18
; NumVgprs: 34
; ScratchSize: 0
; MemoryBound: 0
; FloatMode: 240
; IeeeMode: 1
; LDSByteSize: 16384 bytes/workgroup (compile time only)
; SGPRBlocks: 0
; VGPRBlocks: 2
; NumSGPRsForWavesPerEU: 18
; NumVGPRsForWavesPerEU: 34
; NamedBarCnt: 0
; Occupancy: 16
; WaveLimiterHint : 1
; COMPUTE_PGM_RSRC2:SCRATCH_EN: 0
; COMPUTE_PGM_RSRC2:USER_SGPR: 2
; COMPUTE_PGM_RSRC2:TRAP_HANDLER: 0
; COMPUTE_PGM_RSRC2:TGID_X_EN: 1
; COMPUTE_PGM_RSRC2:TGID_Y_EN: 0
; COMPUTE_PGM_RSRC2:TGID_Z_EN: 0
; COMPUTE_PGM_RSRC2:TIDIG_COMP_CNT: 0
	.section	.AMDGPU.gpr_maximums,"",@progbits
	.set amdgpu.max_num_vgpr, 0
	.set amdgpu.max_num_agpr, 0
	.set amdgpu.max_num_sgpr, 0
	.section	.AMDGPU.csdata,"",@progbits
	.type	__hip_cuid_5dca6e5b4c1403df,@object ; @__hip_cuid_5dca6e5b4c1403df
	.section	.bss,"aw",@nobits
	.globl	__hip_cuid_5dca6e5b4c1403df
__hip_cuid_5dca6e5b4c1403df:
	.byte	0                               ; 0x0
	.size	__hip_cuid_5dca6e5b4c1403df, 1

	.ident	"AMD clang version 22.0.0git (https://github.com/RadeonOpenCompute/llvm-project roc-7.2.4 26084 f58b06dce1f9c15707c5f808fd002e18c2accf7e)"
	.section	".note.GNU-stack","",@progbits
	.addrsig
	.addrsig_sym __hip_cuid_5dca6e5b4c1403df
	.amdgpu_metadata
---
amdhsa.kernels:
  - .args:
      - .offset:         0
        .size:           4
        .value_kind:     by_value
      - .offset:         4
        .size:           4
        .value_kind:     by_value
      - .offset:         8
        .size:           8
        .value_kind:     by_value
      - .actual_access:  read_only
        .address_space:  global
        .offset:         16
        .size:           8
        .value_kind:     global_buffer
      - .offset:         24
        .size:           8
        .value_kind:     by_value
      - .offset:         32
        .size:           4
        .value_kind:     by_value
      - .actual_access:  read_only
        .address_space:  global
        .offset:         40
        .size:           8
        .value_kind:     global_buffer
      - .actual_access:  read_only
        .address_space:  global
        .offset:         48
        .size:           8
        .value_kind:     global_buffer
      - .offset:         56
        .size:           8
        .value_kind:     by_value
      - .address_space:  global
        .offset:         64
        .size:           8
        .value_kind:     global_buffer
      - .offset:         72
        .size:           4
        .value_kind:     by_value
      - .offset:         76
        .size:           1
        .value_kind:     by_value
    .group_segment_fixed_size: 4096
    .kernarg_segment_align: 8
    .kernarg_segment_size: 80
    .language:       OpenCL C
    .language_version:
      - 2
      - 0
    .max_flat_workgroup_size: 1024
    .name:           _ZN9rocsparseL12gemvi_kernelILj1024ELj32EifEEvT1_S1_NS_24const_host_device_scalarIT2_EEPKS3_lS1_S6_PKS1_S4_PS3_21rocsparse_index_base_b
    .private_segment_fixed_size: 0
    .sgpr_count:     22
    .sgpr_spill_count: 0
    .symbol:         _ZN9rocsparseL12gemvi_kernelILj1024ELj32EifEEvT1_S1_NS_24const_host_device_scalarIT2_EEPKS3_lS1_S6_PKS1_S4_PS3_21rocsparse_index_base_b.kd
    .uniform_work_group_size: 1
    .uses_dynamic_stack: false
    .vgpr_count:     16
    .vgpr_spill_count: 0
    .wavefront_size: 32
  - .args:
      - .offset:         0
        .size:           4
        .value_kind:     by_value
      - .offset:         4
        .size:           4
        .value_kind:     by_value
      - .offset:         8
        .size:           8
        .value_kind:     by_value
      - .actual_access:  read_only
        .address_space:  global
        .offset:         16
        .size:           8
        .value_kind:     global_buffer
      - .offset:         24
        .size:           8
        .value_kind:     by_value
      - .offset:         32
        .size:           4
        .value_kind:     by_value
      - .actual_access:  read_only
        .address_space:  global
        .offset:         40
        .size:           8
        .value_kind:     global_buffer
      - .actual_access:  read_only
        .address_space:  global
        .offset:         48
        .size:           8
        .value_kind:     global_buffer
      - .offset:         56
        .size:           8
        .value_kind:     by_value
      - .address_space:  global
        .offset:         64
        .size:           8
        .value_kind:     global_buffer
      - .offset:         72
        .size:           4
        .value_kind:     by_value
      - .offset:         76
        .size:           1
        .value_kind:     by_value
    .group_segment_fixed_size: 4096
    .kernarg_segment_align: 8
    .kernarg_segment_size: 80
    .language:       OpenCL C
    .language_version:
      - 2
      - 0
    .max_flat_workgroup_size: 1024
    .name:           _ZN9rocsparseL12gemvi_kernelILj1024ELj64EifEEvT1_S1_NS_24const_host_device_scalarIT2_EEPKS3_lS1_S6_PKS1_S4_PS3_21rocsparse_index_base_b
    .private_segment_fixed_size: 0
    .sgpr_count:     22
    .sgpr_spill_count: 0
    .symbol:         _ZN9rocsparseL12gemvi_kernelILj1024ELj64EifEEvT1_S1_NS_24const_host_device_scalarIT2_EEPKS3_lS1_S6_PKS1_S4_PS3_21rocsparse_index_base_b.kd
    .uniform_work_group_size: 1
    .uses_dynamic_stack: false
    .vgpr_count:     16
    .vgpr_spill_count: 0
    .wavefront_size: 32
  - .args:
      - .offset:         0
        .size:           4
        .value_kind:     by_value
      - .offset:         4
        .size:           4
        .value_kind:     by_value
      - .offset:         8
        .size:           8
        .value_kind:     by_value
      - .actual_access:  read_only
        .address_space:  global
        .offset:         16
        .size:           8
        .value_kind:     global_buffer
      - .offset:         24
        .size:           8
        .value_kind:     by_value
      - .offset:         32
        .size:           4
        .value_kind:     by_value
      - .actual_access:  read_only
        .address_space:  global
        .offset:         40
        .size:           8
        .value_kind:     global_buffer
      - .actual_access:  read_only
        .address_space:  global
        .offset:         48
        .size:           8
        .value_kind:     global_buffer
      - .offset:         56
        .size:           8
        .value_kind:     by_value
      - .address_space:  global
        .offset:         64
        .size:           8
        .value_kind:     global_buffer
      - .offset:         72
        .size:           4
        .value_kind:     by_value
      - .offset:         76
        .size:           1
        .value_kind:     by_value
    .group_segment_fixed_size: 8192
    .kernarg_segment_align: 8
    .kernarg_segment_size: 80
    .language:       OpenCL C
    .language_version:
      - 2
      - 0
    .max_flat_workgroup_size: 1024
    .name:           _ZN9rocsparseL12gemvi_kernelILj1024ELj32EidEEvT1_S1_NS_24const_host_device_scalarIT2_EEPKS3_lS1_S6_PKS1_S4_PS3_21rocsparse_index_base_b
    .private_segment_fixed_size: 0
    .sgpr_count:     18
    .sgpr_spill_count: 0
    .symbol:         _ZN9rocsparseL12gemvi_kernelILj1024ELj32EidEEvT1_S1_NS_24const_host_device_scalarIT2_EEPKS3_lS1_S6_PKS1_S4_PS3_21rocsparse_index_base_b.kd
    .uniform_work_group_size: 1
    .uses_dynamic_stack: false
    .vgpr_count:     24
    .vgpr_spill_count: 0
    .wavefront_size: 32
  - .args:
      - .offset:         0
        .size:           4
        .value_kind:     by_value
      - .offset:         4
        .size:           4
        .value_kind:     by_value
      - .offset:         8
        .size:           8
        .value_kind:     by_value
      - .actual_access:  read_only
        .address_space:  global
        .offset:         16
        .size:           8
        .value_kind:     global_buffer
      - .offset:         24
        .size:           8
        .value_kind:     by_value
      - .offset:         32
        .size:           4
        .value_kind:     by_value
      - .actual_access:  read_only
        .address_space:  global
        .offset:         40
        .size:           8
        .value_kind:     global_buffer
      - .actual_access:  read_only
        .address_space:  global
        .offset:         48
        .size:           8
        .value_kind:     global_buffer
      - .offset:         56
        .size:           8
        .value_kind:     by_value
      - .address_space:  global
        .offset:         64
        .size:           8
        .value_kind:     global_buffer
      - .offset:         72
        .size:           4
        .value_kind:     by_value
      - .offset:         76
        .size:           1
        .value_kind:     by_value
    .group_segment_fixed_size: 8192
    .kernarg_segment_align: 8
    .kernarg_segment_size: 80
    .language:       OpenCL C
    .language_version:
      - 2
      - 0
    .max_flat_workgroup_size: 1024
    .name:           _ZN9rocsparseL12gemvi_kernelILj1024ELj64EidEEvT1_S1_NS_24const_host_device_scalarIT2_EEPKS3_lS1_S6_PKS1_S4_PS3_21rocsparse_index_base_b
    .private_segment_fixed_size: 0
    .sgpr_count:     18
    .sgpr_spill_count: 0
    .symbol:         _ZN9rocsparseL12gemvi_kernelILj1024ELj64EidEEvT1_S1_NS_24const_host_device_scalarIT2_EEPKS3_lS1_S6_PKS1_S4_PS3_21rocsparse_index_base_b.kd
    .uniform_work_group_size: 1
    .uses_dynamic_stack: false
    .vgpr_count:     24
    .vgpr_spill_count: 0
    .wavefront_size: 32
  - .args:
      - .offset:         0
        .size:           4
        .value_kind:     by_value
      - .offset:         4
        .size:           4
        .value_kind:     by_value
      - .offset:         8
        .size:           8
        .value_kind:     by_value
      - .actual_access:  read_only
        .address_space:  global
        .offset:         16
        .size:           8
        .value_kind:     global_buffer
      - .offset:         24
        .size:           8
        .value_kind:     by_value
      - .offset:         32
        .size:           4
        .value_kind:     by_value
      - .actual_access:  read_only
        .address_space:  global
        .offset:         40
        .size:           8
        .value_kind:     global_buffer
      - .actual_access:  read_only
        .address_space:  global
        .offset:         48
        .size:           8
        .value_kind:     global_buffer
      - .offset:         56
        .size:           8
        .value_kind:     by_value
      - .address_space:  global
        .offset:         64
        .size:           8
        .value_kind:     global_buffer
      - .offset:         72
        .size:           4
        .value_kind:     by_value
      - .offset:         76
        .size:           1
        .value_kind:     by_value
    .group_segment_fixed_size: 8192
    .kernarg_segment_align: 8
    .kernarg_segment_size: 80
    .language:       OpenCL C
    .language_version:
      - 2
      - 0
    .max_flat_workgroup_size: 1024
    .name:           _ZN9rocsparseL12gemvi_kernelILj1024ELj32Ei21rocsparse_complex_numIfEEEvT1_S3_NS_24const_host_device_scalarIT2_EEPKS5_lS3_S8_PKS3_S6_PS5_21rocsparse_index_base_b
    .private_segment_fixed_size: 0
    .sgpr_count:     18
    .sgpr_spill_count: 0
    .symbol:         _ZN9rocsparseL12gemvi_kernelILj1024ELj32Ei21rocsparse_complex_numIfEEEvT1_S3_NS_24const_host_device_scalarIT2_EEPKS5_lS3_S8_PKS3_S6_PS5_21rocsparse_index_base_b.kd
    .uniform_work_group_size: 1
    .uses_dynamic_stack: false
    .vgpr_count:     24
    .vgpr_spill_count: 0
    .wavefront_size: 32
  - .args:
      - .offset:         0
        .size:           4
        .value_kind:     by_value
      - .offset:         4
        .size:           4
        .value_kind:     by_value
      - .offset:         8
        .size:           8
        .value_kind:     by_value
      - .actual_access:  read_only
        .address_space:  global
        .offset:         16
        .size:           8
        .value_kind:     global_buffer
      - .offset:         24
        .size:           8
        .value_kind:     by_value
      - .offset:         32
        .size:           4
        .value_kind:     by_value
      - .actual_access:  read_only
        .address_space:  global
        .offset:         40
        .size:           8
        .value_kind:     global_buffer
      - .actual_access:  read_only
        .address_space:  global
        .offset:         48
        .size:           8
        .value_kind:     global_buffer
      - .offset:         56
        .size:           8
        .value_kind:     by_value
      - .address_space:  global
        .offset:         64
        .size:           8
        .value_kind:     global_buffer
      - .offset:         72
        .size:           4
        .value_kind:     by_value
      - .offset:         76
        .size:           1
        .value_kind:     by_value
    .group_segment_fixed_size: 8192
    .kernarg_segment_align: 8
    .kernarg_segment_size: 80
    .language:       OpenCL C
    .language_version:
      - 2
      - 0
    .max_flat_workgroup_size: 1024
    .name:           _ZN9rocsparseL12gemvi_kernelILj1024ELj64Ei21rocsparse_complex_numIfEEEvT1_S3_NS_24const_host_device_scalarIT2_EEPKS5_lS3_S8_PKS3_S6_PS5_21rocsparse_index_base_b
    .private_segment_fixed_size: 0
    .sgpr_count:     18
    .sgpr_spill_count: 0
    .symbol:         _ZN9rocsparseL12gemvi_kernelILj1024ELj64Ei21rocsparse_complex_numIfEEEvT1_S3_NS_24const_host_device_scalarIT2_EEPKS5_lS3_S8_PKS3_S6_PS5_21rocsparse_index_base_b.kd
    .uniform_work_group_size: 1
    .uses_dynamic_stack: false
    .vgpr_count:     24
    .vgpr_spill_count: 0
    .wavefront_size: 32
  - .args:
      - .offset:         0
        .size:           4
        .value_kind:     by_value
      - .offset:         4
        .size:           4
        .value_kind:     by_value
      - .offset:         8
        .size:           16
        .value_kind:     by_value
      - .actual_access:  read_only
        .address_space:  global
        .offset:         24
        .size:           8
        .value_kind:     global_buffer
      - .offset:         32
        .size:           8
        .value_kind:     by_value
      - .offset:         40
        .size:           4
        .value_kind:     by_value
      - .actual_access:  read_only
        .address_space:  global
        .offset:         48
        .size:           8
        .value_kind:     global_buffer
      - .actual_access:  read_only
        .address_space:  global
        .offset:         56
        .size:           8
        .value_kind:     global_buffer
      - .offset:         64
        .size:           16
        .value_kind:     by_value
      - .address_space:  global
        .offset:         80
        .size:           8
        .value_kind:     global_buffer
      - .offset:         88
        .size:           4
        .value_kind:     by_value
      - .offset:         92
        .size:           1
        .value_kind:     by_value
    .group_segment_fixed_size: 16384
    .kernarg_segment_align: 8
    .kernarg_segment_size: 96
    .language:       OpenCL C
    .language_version:
      - 2
      - 0
    .max_flat_workgroup_size: 1024
    .name:           _ZN9rocsparseL12gemvi_kernelILj1024ELj32Ei21rocsparse_complex_numIdEEEvT1_S3_NS_24const_host_device_scalarIT2_EEPKS5_lS3_S8_PKS3_S6_PS5_21rocsparse_index_base_b
    .private_segment_fixed_size: 0
    .sgpr_count:     18
    .sgpr_spill_count: 0
    .symbol:         _ZN9rocsparseL12gemvi_kernelILj1024ELj32Ei21rocsparse_complex_numIdEEEvT1_S3_NS_24const_host_device_scalarIT2_EEPKS5_lS3_S8_PKS3_S6_PS5_21rocsparse_index_base_b.kd
    .uniform_work_group_size: 1
    .uses_dynamic_stack: false
    .vgpr_count:     34
    .vgpr_spill_count: 0
    .wavefront_size: 32
  - .args:
      - .offset:         0
        .size:           4
        .value_kind:     by_value
      - .offset:         4
        .size:           4
        .value_kind:     by_value
      - .offset:         8
        .size:           16
        .value_kind:     by_value
      - .actual_access:  read_only
        .address_space:  global
        .offset:         24
        .size:           8
        .value_kind:     global_buffer
      - .offset:         32
        .size:           8
        .value_kind:     by_value
      - .offset:         40
        .size:           4
        .value_kind:     by_value
      - .actual_access:  read_only
        .address_space:  global
        .offset:         48
        .size:           8
        .value_kind:     global_buffer
      - .actual_access:  read_only
        .address_space:  global
        .offset:         56
        .size:           8
        .value_kind:     global_buffer
      - .offset:         64
        .size:           16
        .value_kind:     by_value
      - .address_space:  global
        .offset:         80
        .size:           8
        .value_kind:     global_buffer
      - .offset:         88
        .size:           4
        .value_kind:     by_value
      - .offset:         92
        .size:           1
        .value_kind:     by_value
    .group_segment_fixed_size: 16384
    .kernarg_segment_align: 8
    .kernarg_segment_size: 96
    .language:       OpenCL C
    .language_version:
      - 2
      - 0
    .max_flat_workgroup_size: 1024
    .name:           _ZN9rocsparseL12gemvi_kernelILj1024ELj64Ei21rocsparse_complex_numIdEEEvT1_S3_NS_24const_host_device_scalarIT2_EEPKS5_lS3_S8_PKS3_S6_PS5_21rocsparse_index_base_b
    .private_segment_fixed_size: 0
    .sgpr_count:     18
    .sgpr_spill_count: 0
    .symbol:         _ZN9rocsparseL12gemvi_kernelILj1024ELj64Ei21rocsparse_complex_numIdEEEvT1_S3_NS_24const_host_device_scalarIT2_EEPKS5_lS3_S8_PKS3_S6_PS5_21rocsparse_index_base_b.kd
    .uniform_work_group_size: 1
    .uses_dynamic_stack: false
    .vgpr_count:     34
    .vgpr_spill_count: 0
    .wavefront_size: 32
amdhsa.target:   amdgcn-amd-amdhsa--gfx1250
amdhsa.version:
  - 1
  - 2
...

	.end_amdgpu_metadata
